;; amdgpu-corpus repo=ROCm/rocFFT kind=compiled arch=gfx906 opt=O3
	.text
	.amdgcn_target "amdgcn-amd-amdhsa--gfx906"
	.amdhsa_code_object_version 6
	.protected	fft_rtc_fwd_len2000_factors_5_5_5_16_wgs_125_tpt_125_halfLds_half_op_CI_CI_unitstride_sbrr_dirReg ; -- Begin function fft_rtc_fwd_len2000_factors_5_5_5_16_wgs_125_tpt_125_halfLds_half_op_CI_CI_unitstride_sbrr_dirReg
	.globl	fft_rtc_fwd_len2000_factors_5_5_5_16_wgs_125_tpt_125_halfLds_half_op_CI_CI_unitstride_sbrr_dirReg
	.p2align	8
	.type	fft_rtc_fwd_len2000_factors_5_5_5_16_wgs_125_tpt_125_halfLds_half_op_CI_CI_unitstride_sbrr_dirReg,@function
fft_rtc_fwd_len2000_factors_5_5_5_16_wgs_125_tpt_125_halfLds_half_op_CI_CI_unitstride_sbrr_dirReg: ; @fft_rtc_fwd_len2000_factors_5_5_5_16_wgs_125_tpt_125_halfLds_half_op_CI_CI_unitstride_sbrr_dirReg
; %bb.0:
	s_load_dwordx4 s[8:11], s[4:5], 0x58
	s_load_dwordx4 s[12:15], s[4:5], 0x0
	;; [unrolled: 1-line block ×3, first 2 shown]
	v_mul_u32_u24_e32 v1, 0x20d, v0
	v_mov_b32_e32 v8, 0
	v_mov_b32_e32 v6, 0
	s_waitcnt lgkmcnt(0)
	v_cmp_lt_u64_e64 s[0:1], s[14:15], 2
	v_add_u32_sdwa v10, s6, v1 dst_sel:DWORD dst_unused:UNUSED_PAD src0_sel:DWORD src1_sel:WORD_1
	v_mov_b32_e32 v11, v8
	s_and_b64 vcc, exec, s[0:1]
	v_mov_b32_e32 v7, 0
	s_cbranch_vccnz .LBB0_8
; %bb.1:
	s_load_dwordx2 s[0:1], s[4:5], 0x10
	s_add_u32 s2, s18, 8
	s_addc_u32 s3, s19, 0
	s_add_u32 s6, s16, 8
	s_addc_u32 s7, s17, 0
	v_mov_b32_e32 v6, 0
	s_waitcnt lgkmcnt(0)
	s_add_u32 s20, s0, 8
	v_mov_b32_e32 v7, 0
	v_mov_b32_e32 v1, v6
	s_addc_u32 s21, s1, 0
	s_mov_b64 s[22:23], 1
	v_mov_b32_e32 v2, v7
.LBB0_2:                                ; =>This Inner Loop Header: Depth=1
	s_load_dwordx2 s[24:25], s[20:21], 0x0
                                        ; implicit-def: $vgpr3_vgpr4
	s_waitcnt lgkmcnt(0)
	v_or_b32_e32 v9, s25, v11
	v_cmp_ne_u64_e32 vcc, 0, v[8:9]
	s_and_saveexec_b64 s[0:1], vcc
	s_xor_b64 s[26:27], exec, s[0:1]
	s_cbranch_execz .LBB0_4
; %bb.3:                                ;   in Loop: Header=BB0_2 Depth=1
	v_cvt_f32_u32_e32 v3, s24
	v_cvt_f32_u32_e32 v4, s25
	s_sub_u32 s0, 0, s24
	s_subb_u32 s1, 0, s25
	v_mac_f32_e32 v3, 0x4f800000, v4
	v_rcp_f32_e32 v3, v3
	v_mul_f32_e32 v3, 0x5f7ffffc, v3
	v_mul_f32_e32 v4, 0x2f800000, v3
	v_trunc_f32_e32 v4, v4
	v_mac_f32_e32 v3, 0xcf800000, v4
	v_cvt_u32_f32_e32 v4, v4
	v_cvt_u32_f32_e32 v3, v3
	v_mul_lo_u32 v5, s0, v4
	v_mul_hi_u32 v9, s0, v3
	v_mul_lo_u32 v13, s1, v3
	v_mul_lo_u32 v12, s0, v3
	v_add_u32_e32 v5, v9, v5
	v_add_u32_e32 v5, v5, v13
	v_mul_hi_u32 v9, v3, v12
	v_mul_lo_u32 v13, v3, v5
	v_mul_hi_u32 v15, v3, v5
	v_mul_hi_u32 v14, v4, v12
	v_mul_lo_u32 v12, v4, v12
	v_mul_hi_u32 v16, v4, v5
	v_add_co_u32_e32 v9, vcc, v9, v13
	v_addc_co_u32_e32 v13, vcc, 0, v15, vcc
	v_mul_lo_u32 v5, v4, v5
	v_add_co_u32_e32 v9, vcc, v9, v12
	v_addc_co_u32_e32 v9, vcc, v13, v14, vcc
	v_addc_co_u32_e32 v12, vcc, 0, v16, vcc
	v_add_co_u32_e32 v5, vcc, v9, v5
	v_addc_co_u32_e32 v9, vcc, 0, v12, vcc
	v_add_co_u32_e32 v3, vcc, v3, v5
	v_addc_co_u32_e32 v4, vcc, v4, v9, vcc
	v_mul_lo_u32 v5, s0, v4
	v_mul_hi_u32 v9, s0, v3
	v_mul_lo_u32 v12, s1, v3
	v_mul_lo_u32 v13, s0, v3
	v_add_u32_e32 v5, v9, v5
	v_add_u32_e32 v5, v5, v12
	v_mul_lo_u32 v14, v3, v5
	v_mul_hi_u32 v15, v3, v13
	v_mul_hi_u32 v16, v3, v5
	v_mul_hi_u32 v12, v4, v13
	v_mul_lo_u32 v13, v4, v13
	v_mul_hi_u32 v9, v4, v5
	v_add_co_u32_e32 v14, vcc, v15, v14
	v_addc_co_u32_e32 v15, vcc, 0, v16, vcc
	v_mul_lo_u32 v5, v4, v5
	v_add_co_u32_e32 v13, vcc, v14, v13
	v_addc_co_u32_e32 v12, vcc, v15, v12, vcc
	v_addc_co_u32_e32 v9, vcc, 0, v9, vcc
	v_add_co_u32_e32 v5, vcc, v12, v5
	v_addc_co_u32_e32 v9, vcc, 0, v9, vcc
	v_add_co_u32_e32 v5, vcc, v3, v5
	v_addc_co_u32_e32 v9, vcc, v4, v9, vcc
	v_mad_u64_u32 v[3:4], s[0:1], v10, v9, 0
	v_mul_hi_u32 v12, v10, v5
	v_add_co_u32_e32 v14, vcc, v12, v3
	v_addc_co_u32_e32 v15, vcc, 0, v4, vcc
	v_mad_u64_u32 v[3:4], s[0:1], v11, v5, 0
	v_mad_u64_u32 v[12:13], s[0:1], v11, v9, 0
	v_add_co_u32_e32 v3, vcc, v14, v3
	v_addc_co_u32_e32 v3, vcc, v15, v4, vcc
	v_addc_co_u32_e32 v4, vcc, 0, v13, vcc
	v_add_co_u32_e32 v5, vcc, v3, v12
	v_addc_co_u32_e32 v9, vcc, 0, v4, vcc
	v_mul_lo_u32 v12, s25, v5
	v_mul_lo_u32 v13, s24, v9
	v_mad_u64_u32 v[3:4], s[0:1], s24, v5, 0
	v_add3_u32 v4, v4, v13, v12
	v_sub_u32_e32 v12, v11, v4
	v_mov_b32_e32 v13, s25
	v_sub_co_u32_e32 v3, vcc, v10, v3
	v_subb_co_u32_e64 v12, s[0:1], v12, v13, vcc
	v_subrev_co_u32_e64 v13, s[0:1], s24, v3
	v_subbrev_co_u32_e64 v12, s[0:1], 0, v12, s[0:1]
	v_cmp_le_u32_e64 s[0:1], s25, v12
	v_cndmask_b32_e64 v14, 0, -1, s[0:1]
	v_cmp_le_u32_e64 s[0:1], s24, v13
	v_cndmask_b32_e64 v13, 0, -1, s[0:1]
	v_cmp_eq_u32_e64 s[0:1], s25, v12
	v_cndmask_b32_e64 v12, v14, v13, s[0:1]
	v_add_co_u32_e64 v13, s[0:1], 2, v5
	v_addc_co_u32_e64 v14, s[0:1], 0, v9, s[0:1]
	v_add_co_u32_e64 v15, s[0:1], 1, v5
	v_addc_co_u32_e64 v16, s[0:1], 0, v9, s[0:1]
	v_subb_co_u32_e32 v4, vcc, v11, v4, vcc
	v_cmp_ne_u32_e64 s[0:1], 0, v12
	v_cmp_le_u32_e32 vcc, s25, v4
	v_cndmask_b32_e64 v12, v16, v14, s[0:1]
	v_cndmask_b32_e64 v14, 0, -1, vcc
	v_cmp_le_u32_e32 vcc, s24, v3
	v_cndmask_b32_e64 v3, 0, -1, vcc
	v_cmp_eq_u32_e32 vcc, s25, v4
	v_cndmask_b32_e32 v3, v14, v3, vcc
	v_cmp_ne_u32_e32 vcc, 0, v3
	v_cndmask_b32_e64 v3, v15, v13, s[0:1]
	v_cndmask_b32_e32 v4, v9, v12, vcc
	v_cndmask_b32_e32 v3, v5, v3, vcc
.LBB0_4:                                ;   in Loop: Header=BB0_2 Depth=1
	s_andn2_saveexec_b64 s[0:1], s[26:27]
	s_cbranch_execz .LBB0_6
; %bb.5:                                ;   in Loop: Header=BB0_2 Depth=1
	v_cvt_f32_u32_e32 v3, s24
	s_sub_i32 s26, 0, s24
	v_rcp_iflag_f32_e32 v3, v3
	v_mul_f32_e32 v3, 0x4f7ffffe, v3
	v_cvt_u32_f32_e32 v3, v3
	v_mul_lo_u32 v4, s26, v3
	v_mul_hi_u32 v4, v3, v4
	v_add_u32_e32 v3, v3, v4
	v_mul_hi_u32 v3, v10, v3
	v_mul_lo_u32 v4, v3, s24
	v_add_u32_e32 v5, 1, v3
	v_sub_u32_e32 v4, v10, v4
	v_subrev_u32_e32 v9, s24, v4
	v_cmp_le_u32_e32 vcc, s24, v4
	v_cndmask_b32_e32 v4, v4, v9, vcc
	v_cndmask_b32_e32 v3, v3, v5, vcc
	v_add_u32_e32 v5, 1, v3
	v_cmp_le_u32_e32 vcc, s24, v4
	v_cndmask_b32_e32 v3, v3, v5, vcc
	v_mov_b32_e32 v4, v8
.LBB0_6:                                ;   in Loop: Header=BB0_2 Depth=1
	s_or_b64 exec, exec, s[0:1]
	v_mul_lo_u32 v5, v4, s24
	v_mul_lo_u32 v9, v3, s25
	v_mad_u64_u32 v[12:13], s[0:1], v3, s24, 0
	s_load_dwordx2 s[0:1], s[6:7], 0x0
	s_load_dwordx2 s[24:25], s[2:3], 0x0
	v_add3_u32 v5, v13, v9, v5
	v_sub_co_u32_e32 v9, vcc, v10, v12
	v_subb_co_u32_e32 v5, vcc, v11, v5, vcc
	s_waitcnt lgkmcnt(0)
	v_mul_lo_u32 v10, s0, v5
	v_mul_lo_u32 v11, s1, v9
	v_mad_u64_u32 v[6:7], s[0:1], s0, v9, v[6:7]
	s_add_u32 s22, s22, 1
	s_addc_u32 s23, s23, 0
	s_add_u32 s2, s2, 8
	v_mul_lo_u32 v5, s24, v5
	v_mul_lo_u32 v12, s25, v9
	v_mad_u64_u32 v[1:2], s[0:1], s24, v9, v[1:2]
	v_add3_u32 v7, v11, v7, v10
	s_addc_u32 s3, s3, 0
	v_mov_b32_e32 v9, s14
	s_add_u32 s6, s6, 8
	v_mov_b32_e32 v10, s15
	s_addc_u32 s7, s7, 0
	v_cmp_ge_u64_e32 vcc, s[22:23], v[9:10]
	s_add_u32 s20, s20, 8
	v_add3_u32 v2, v12, v2, v5
	s_addc_u32 s21, s21, 0
	s_cbranch_vccnz .LBB0_9
; %bb.7:                                ;   in Loop: Header=BB0_2 Depth=1
	v_mov_b32_e32 v11, v4
	v_mov_b32_e32 v10, v3
	s_branch .LBB0_2
.LBB0_8:
	v_mov_b32_e32 v1, v6
	v_mov_b32_e32 v3, v10
	;; [unrolled: 1-line block ×4, first 2 shown]
.LBB0_9:
	s_load_dwordx2 s[4:5], s[4:5], 0x28
	s_lshl_b64 s[6:7], s[14:15], 3
	s_add_u32 s2, s18, s6
	s_addc_u32 s3, s19, s7
                                        ; implicit-def: $sgpr14
                                        ; implicit-def: $vgpr8
	s_waitcnt lgkmcnt(0)
	v_cmp_gt_u64_e64 s[0:1], s[4:5], v[3:4]
	v_cmp_le_u64_e32 vcc, s[4:5], v[3:4]
	s_and_saveexec_b64 s[4:5], vcc
	s_xor_b64 s[4:5], exec, s[4:5]
; %bb.10:
	s_mov_b32 s14, 0x20c49bb
	v_mul_hi_u32 v5, v0, s14
	s_mov_b32 s14, 0
                                        ; implicit-def: $vgpr6_vgpr7
	v_mul_u32_u24_e32 v5, 0x7d, v5
	v_sub_u32_e32 v8, v0, v5
                                        ; implicit-def: $vgpr0
; %bb.11:
	s_or_saveexec_b64 s[4:5], s[4:5]
	s_load_dwordx2 s[2:3], s[2:3], 0x0
	v_mov_b32_e32 v5, s14
                                        ; implicit-def: $vgpr40
                                        ; implicit-def: $vgpr16
                                        ; implicit-def: $vgpr27
                                        ; implicit-def: $vgpr15
                                        ; implicit-def: $vgpr11
                                        ; implicit-def: $vgpr14
                                        ; implicit-def: $vgpr17
                                        ; implicit-def: $vgpr20
                                        ; implicit-def: $vgpr24
                                        ; implicit-def: $vgpr26
                                        ; implicit-def: $vgpr12
                                        ; implicit-def: $vgpr25
                                        ; implicit-def: $vgpr13
                                        ; implicit-def: $vgpr22
                                        ; implicit-def: $vgpr10
                                        ; implicit-def: $vgpr23
                                        ; implicit-def: $vgpr47
                                        ; implicit-def: $vgpr49
                                        ; implicit-def: $vgpr51
                                        ; implicit-def: $vgpr52
                                        ; implicit-def: $vgpr42
                                        ; implicit-def: $vgpr44
                                        ; implicit-def: $vgpr48
                                        ; implicit-def: $vgpr50
                                        ; implicit-def: $vgpr29
                                        ; implicit-def: $vgpr37
                                        ; implicit-def: $vgpr45
                                        ; implicit-def: $vgpr46
	s_xor_b64 exec, exec, s[4:5]
	s_cbranch_execz .LBB0_15
; %bb.12:
	s_add_u32 s6, s16, s6
	s_addc_u32 s7, s17, s7
	s_load_dwordx2 s[6:7], s[6:7], 0x0
	s_mov_b32 s14, 0x20c49bb
	v_mul_hi_u32 v5, v0, s14
                                        ; implicit-def: $vgpr23
                                        ; implicit-def: $vgpr22
                                        ; implicit-def: $vgpr13
                                        ; implicit-def: $vgpr25
                                        ; implicit-def: $vgpr26
                                        ; implicit-def: $vgpr24
                                        ; implicit-def: $vgpr20
                                        ; implicit-def: $vgpr17
	s_waitcnt lgkmcnt(0)
	v_mul_lo_u32 v11, s7, v3
	v_mul_lo_u32 v12, s6, v4
	v_mad_u64_u32 v[9:10], s[6:7], s6, v3, 0
	v_mul_u32_u24_e32 v5, 0x7d, v5
	v_sub_u32_e32 v8, v0, v5
	v_add3_u32 v10, v10, v12, v11
	v_lshlrev_b64 v[9:10], 2, v[9:10]
	v_mov_b32_e32 v0, s9
	v_add_co_u32_e32 v9, vcc, s8, v9
	v_lshlrev_b64 v[5:6], 2, v[6:7]
	v_addc_co_u32_e32 v0, vcc, v0, v10, vcc
	v_add_co_u32_e32 v5, vcc, v9, v5
	v_addc_co_u32_e32 v0, vcc, v0, v6, vcc
	v_lshlrev_b32_e32 v6, 2, v8
	v_add_co_u32_e32 v5, vcc, v5, v6
	v_addc_co_u32_e32 v6, vcc, 0, v0, vcc
	s_movk_i32 s6, 0x1000
	v_add_co_u32_e32 v10, vcc, s6, v5
	v_addc_co_u32_e32 v11, vcc, 0, v6, vcc
	global_load_dword v16, v[5:6], off
	global_load_dword v15, v[5:6], off offset:500
	global_load_dword v0, v[5:6], off offset:2100
	;; [unrolled: 1-line block ×14, first 2 shown]
	v_cmp_gt_u32_e32 vcc, 25, v8
	s_mov_b32 s9, 0x7060302
	s_mov_b32 s8, 0x5040100
                                        ; implicit-def: $vgpr10
                                        ; implicit-def: $vgpr12
	s_and_saveexec_b64 s[6:7], vcc
	s_cbranch_execz .LBB0_14
; %bb.13:
	v_add_co_u32_e32 v10, vcc, 0x1000, v5
	v_addc_co_u32_e32 v11, vcc, 0, v6, vcc
	global_load_dword v20, v[5:6], off offset:1500
	global_load_dword v23, v[5:6], off offset:3100
	;; [unrolled: 1-line block ×5, first 2 shown]
	s_waitcnt vmcnt(4)
	v_lshrrev_b32_e32 v17, 16, v20
	s_waitcnt vmcnt(3)
	v_lshrrev_b32_e32 v10, 16, v23
	s_waitcnt vmcnt(2)
	v_lshrrev_b32_e32 v13, 16, v22
	s_waitcnt vmcnt(1)
	v_lshrrev_b32_e32 v12, 16, v25
	s_waitcnt vmcnt(0)
	v_lshrrev_b32_e32 v24, 16, v26
.LBB0_14:
	s_or_b64 exec, exec, s[6:7]
	s_waitcnt vmcnt(14)
	v_lshrrev_b32_e32 v40, 16, v16
	s_waitcnt vmcnt(13)
	v_lshrrev_b32_e32 v27, 16, v15
	;; [unrolled: 2-line block ×3, first 2 shown]
	v_perm_b32 v47, v19, v29, s9
	s_waitcnt vmcnt(1)
	v_perm_b32 v49, v33, v32, s9
	v_perm_b32 v51, v19, v29, s8
	;; [unrolled: 1-line block ×7, first 2 shown]
	s_waitcnt vmcnt(0)
	v_perm_b32 v29, v31, v18, s9
	v_perm_b32 v37, v30, v21, s9
	v_perm_b32 v45, v31, v18, s8
	v_perm_b32 v46, v30, v21, s8
	v_mov_b32_e32 v5, v8
.LBB0_15:
	s_or_b64 exec, exec, s[4:5]
	v_add_f16_e32 v6, v48, v15
	v_add_f16_sdwa v6, v6, v48 dst_sel:DWORD dst_unused:UNUSED_PAD src0_sel:DWORD src1_sel:WORD_1
	v_add_f16_sdwa v6, v6, v50 dst_sel:DWORD dst_unused:UNUSED_PAD src0_sel:DWORD src1_sel:WORD_1
	v_add_f16_e32 v7, v6, v50
	v_add_f16_e32 v6, v45, v14
	v_add_f16_sdwa v6, v6, v45 dst_sel:DWORD dst_unused:UNUSED_PAD src0_sel:DWORD src1_sel:WORD_1
	v_add_f16_sdwa v6, v6, v46 dst_sel:DWORD dst_unused:UNUSED_PAD src0_sel:DWORD src1_sel:WORD_1
	v_add_f16_e32 v28, v6, v46
	v_add_f16_e32 v6, v20, v23
	;; [unrolled: 1-line block ×6, first 2 shown]
	v_fma_f16 v6, v6, -0.5, v20
	v_sub_f16_e32 v30, v10, v24
	s_movk_i32 s4, 0x3b9c
	s_mov_b32 s7, 0xbb9c
	v_fma_f16 v18, v30, s4, v6
	v_sub_f16_e32 v31, v13, v12
	s_movk_i32 s5, 0x38b4
	v_sub_f16_e32 v19, v23, v22
	v_sub_f16_e32 v21, v26, v25
	v_fma_f16 v6, v30, s7, v6
	s_mov_b32 s8, 0xb8b4
	v_fma_f16 v18, v31, s5, v18
	v_add_f16_e32 v21, v21, v19
	s_movk_i32 s6, 0x34f2
	v_fma_f16 v6, v31, s8, v6
	v_fma_f16 v19, v21, s6, v18
	v_fma_f16 v18, v21, s6, v6
	v_add_f16_e32 v6, v26, v23
	v_add_f16_e32 v0, v51, v16
	v_fma_f16 v6, v6, -0.5, v20
	v_add_f16_sdwa v0, v0, v51 dst_sel:DWORD dst_unused:UNUSED_PAD src0_sel:DWORD src1_sel:WORD_1
	v_fma_f16 v20, v31, s7, v6
	v_sub_f16_e32 v21, v22, v23
	v_sub_f16_e32 v32, v25, v26
	v_fma_f16 v6, v31, s4, v6
	v_add_f16_sdwa v0, v0, v52 dst_sel:DWORD dst_unused:UNUSED_PAD src0_sel:DWORD src1_sel:WORD_1
	v_fma_f16 v20, v30, s5, v20
	v_add_f16_e32 v32, v32, v21
	v_fma_f16 v6, v30, s8, v6
	v_add_f16_e32 v0, v0, v52
	v_fma_f16 v21, v32, s6, v20
	v_fma_f16 v20, v32, s6, v6
	v_mad_u32_u24 v6, v8, 10, 0
	ds_write_b16 v6, v0
	v_pk_add_f16 v0, v47, v49 neg_lo:[0,1] neg_hi:[0,1]
	v_pk_add_f16 v30, v51, v52
	v_pk_fma_f16 v16, v30, 0.5, v16 op_sel_hi:[1,0,0] neg_lo:[1,0,0] neg_hi:[1,0,0]
	v_pk_mul_f16 v30, v0, s4 op_sel_hi:[1,0]
	v_pk_add_f16 v31, v51, v51 op_sel:[1,0] op_sel_hi:[0,1] neg_lo:[0,1] neg_hi:[0,1]
	v_pk_add_f16 v32, v52, v52 op_sel:[1,0] op_sel_hi:[0,1] neg_lo:[0,1] neg_hi:[0,1]
	v_pk_add_f16 v31, v31, v32
	v_pk_add_f16 v32, v16, v30 op_sel:[0,1] op_sel_hi:[1,0]
	v_pk_add_f16 v16, v16, v30 op_sel:[0,1] op_sel_hi:[1,0] neg_lo:[0,1] neg_hi:[0,1]
	s_mov_b32 s7, 0xffff
	v_bfi_b32 v30, s7, v16, v32
	v_pk_fma_f16 v30, v0, s5, v30 op_sel_hi:[1,0,1]
	v_bfi_b32 v16, s7, v32, v16
	v_pk_fma_f16 v30, v31, s6, v30 op_sel_hi:[1,0,1]
	v_pk_fma_f16 v0, v0, s5, v16 op_sel_hi:[1,0,1] neg_lo:[1,0,0] neg_hi:[1,0,0]
	v_alignbit_b32 v30, v30, v30, 16
	v_pk_fma_f16 v31, v31, s6, v0 op_sel_hi:[1,0,1]
	ds_write_b64 v6, v[30:31] offset:2
	ds_write_b16 v6, v7 offset:1250
	v_pk_add_f16 v0, v42, v44 neg_lo:[0,1] neg_hi:[0,1]
	v_pk_add_f16 v7, v48, v50
	v_pk_fma_f16 v7, v7, 0.5, v15 op_sel_hi:[1,0,0] neg_lo:[1,0,0] neg_hi:[1,0,0]
	v_pk_mul_f16 v15, v0, s4 op_sel_hi:[1,0]
	v_pk_add_f16 v16, v48, v48 op_sel:[1,0] op_sel_hi:[0,1] neg_lo:[0,1] neg_hi:[0,1]
	v_pk_add_f16 v30, v50, v50 op_sel:[1,0] op_sel_hi:[0,1] neg_lo:[0,1] neg_hi:[0,1]
	v_pk_add_f16 v16, v16, v30
	v_pk_add_f16 v30, v7, v15 op_sel:[0,1] op_sel_hi:[1,0]
	v_pk_add_f16 v7, v7, v15 op_sel:[0,1] op_sel_hi:[1,0] neg_lo:[0,1] neg_hi:[0,1]
	v_bfi_b32 v15, s7, v7, v30
	v_pk_fma_f16 v15, v0, s5, v15 op_sel_hi:[1,0,1]
	v_bfi_b32 v7, s7, v30, v7
	v_pk_fma_f16 v15, v16, s6, v15 op_sel_hi:[1,0,1]
	v_pk_fma_f16 v0, v0, s5, v7 op_sel_hi:[1,0,1] neg_lo:[1,0,0] neg_hi:[1,0,0]
	v_alignbit_b32 v15, v15, v15, 16
	v_pk_fma_f16 v16, v16, s6, v0 op_sel_hi:[1,0,1]
	v_pk_add_f16 v0, v29, v37 neg_lo:[0,1] neg_hi:[0,1]
	v_pk_add_f16 v7, v45, v46
	ds_write_b64 v6, v[15:16] offset:1252
	ds_write_b16 v6, v28 offset:2500
	v_pk_fma_f16 v7, v7, 0.5, v14 op_sel_hi:[1,0,0] neg_lo:[1,0,0] neg_hi:[1,0,0]
	v_pk_mul_f16 v14, v0, s4 op_sel_hi:[1,0]
	v_pk_add_f16 v15, v45, v45 op_sel:[1,0] op_sel_hi:[0,1] neg_lo:[0,1] neg_hi:[0,1]
	v_pk_add_f16 v16, v46, v46 op_sel:[1,0] op_sel_hi:[0,1] neg_lo:[0,1] neg_hi:[0,1]
	v_pk_add_f16 v15, v15, v16
	v_pk_add_f16 v16, v7, v14 op_sel:[0,1] op_sel_hi:[1,0]
	v_pk_add_f16 v7, v7, v14 op_sel:[0,1] op_sel_hi:[1,0] neg_lo:[0,1] neg_hi:[0,1]
	v_bfi_b32 v14, s7, v7, v16
	v_pk_fma_f16 v14, v0, s5, v14 op_sel_hi:[1,0,1]
	v_bfi_b32 v7, s7, v16, v7
	v_pk_fma_f16 v14, v15, s6, v14 op_sel_hi:[1,0,1]
	v_pk_fma_f16 v0, v0, s5, v7 op_sel_hi:[1,0,1] neg_lo:[1,0,0] neg_hi:[1,0,0]
	v_alignbit_b32 v14, v14, v14, 16
	v_pk_fma_f16 v15, v15, s6, v0 op_sel_hi:[1,0,1]
	v_cmp_gt_u32_e32 vcc, 25, v8
	ds_write_b64 v6, v[14:15] offset:2502
	s_and_saveexec_b64 s[4:5], vcc
	s_cbranch_execz .LBB0_17
; %bb.16:
	s_mov_b32 s6, 0x5040100
	v_perm_b32 v15, v20, v21, s6
	v_perm_b32 v14, v19, v9, s6
	ds_write_b64 v6, v[14:15] offset:3750
	ds_write_b16 v6, v18 offset:3758
.LBB0_17:
	s_or_b64 exec, exec, s[4:5]
	v_lshlrev_b32_e32 v0, 3, v8
	v_sub_u32_e32 v0, v6, v0
	s_waitcnt lgkmcnt(0)
	s_barrier
	ds_read_u16 v16, v0
	ds_read_u16 v14, v0 offset:250
	ds_read_u16 v31, v0 offset:1050
	;; [unrolled: 1-line block ×14, first 2 shown]
	s_and_saveexec_b64 s[4:5], vcc
	s_cbranch_execz .LBB0_19
; %bb.18:
	ds_read_u16 v9, v0 offset:750
	ds_read_u16 v19, v0 offset:1550
	ds_read_u16 v21, v0 offset:2350
	ds_read_u16 v20, v0 offset:3150
	ds_read_u16 v18, v0 offset:3950
.LBB0_19:
	s_or_b64 exec, exec, s[4:5]
	v_add_f16_e32 v7, v47, v40
	v_pk_add_f16 v51, v51, v52 neg_lo:[0,1] neg_hi:[0,1]
	v_pk_add_f16 v52, v47, v49
	v_add_f16_sdwa v7, v7, v47 dst_sel:DWORD dst_unused:UNUSED_PAD src0_sel:DWORD src1_sel:WORD_1
	v_pk_fma_f16 v40, v52, 0.5, v40 op_sel_hi:[1,0,0] neg_lo:[1,0,0] neg_hi:[1,0,0]
	s_movk_i32 s4, 0x3b9c
	v_add_f16_sdwa v7, v7, v49 dst_sel:DWORD dst_unused:UNUSED_PAD src0_sel:DWORD src1_sel:WORD_1
	v_pk_fma_f16 v52, v51, s4, v40 op_sel:[0,0,1] op_sel_hi:[1,0,0] neg_lo:[1,0,0] neg_hi:[1,0,0]
	v_pk_fma_f16 v40, v51, s4, v40 op_sel:[0,0,1] op_sel_hi:[1,0,0]
	s_mov_b32 s5, 0xffff
	s_movk_i32 s6, 0x38b4
	v_add_f16_e32 v7, v7, v49
	v_bfi_b32 v53, s5, v52, v40
	v_pk_mul_f16 v54, v51, s6 op_sel_hi:[1,0]
	v_pk_add_f16 v47, v47, v47 op_sel:[0,1] op_sel_hi:[1,0] neg_lo:[0,1] neg_hi:[0,1]
	v_pk_add_f16 v49, v49, v49 op_sel:[0,1] op_sel_hi:[1,0] neg_lo:[0,1] neg_hi:[0,1]
	v_bfi_b32 v40, s5, v40, v52
	v_pk_add_f16 v51, v53, v54 op_sel:[0,1] op_sel_hi:[1,0] neg_lo:[0,1] neg_hi:[0,1]
	v_pk_add_f16 v47, v47, v49
	s_movk_i32 s7, 0x34f2
	v_pk_add_f16 v40, v54, v40 op_sel:[1,0] op_sel_hi:[0,1]
	v_pk_fma_f16 v51, v47, s7, v51 op_sel_hi:[1,0,1]
	v_pk_fma_f16 v40, v47, s7, v40 op_sel_hi:[1,0,1]
	v_add_f16_e32 v47, v42, v27
	v_add_f16_sdwa v47, v47, v42 dst_sel:DWORD dst_unused:UNUSED_PAD src0_sel:DWORD src1_sel:WORD_1
	v_add_f16_sdwa v47, v47, v44 dst_sel:DWORD dst_unused:UNUSED_PAD src0_sel:DWORD src1_sel:WORD_1
	v_add_f16_e32 v54, v47, v44
	v_pk_add_f16 v47, v48, v50 neg_lo:[0,1] neg_hi:[0,1]
	v_pk_add_f16 v48, v42, v44
	v_pk_fma_f16 v27, v48, 0.5, v27 op_sel_hi:[1,0,0] neg_lo:[1,0,0] neg_hi:[1,0,0]
	v_pk_fma_f16 v48, v47, s4, v27 op_sel:[0,0,1] op_sel_hi:[1,0,0] neg_lo:[1,0,0] neg_hi:[1,0,0]
	v_pk_fma_f16 v27, v47, s4, v27 op_sel:[0,0,1] op_sel_hi:[1,0,0]
	v_bfi_b32 v49, s5, v48, v27
	v_pk_mul_f16 v47, v47, s6 op_sel_hi:[1,0]
	v_pk_add_f16 v42, v42, v42 op_sel:[0,1] op_sel_hi:[1,0] neg_lo:[0,1] neg_hi:[0,1]
	v_pk_add_f16 v44, v44, v44 op_sel:[0,1] op_sel_hi:[1,0] neg_lo:[0,1] neg_hi:[0,1]
	v_bfi_b32 v27, s5, v27, v48
	v_pk_add_f16 v49, v49, v47 op_sel:[0,1] op_sel_hi:[1,0] neg_lo:[0,1] neg_hi:[0,1]
	v_pk_add_f16 v42, v42, v44
	v_pk_add_f16 v27, v47, v27 op_sel:[1,0] op_sel_hi:[0,1]
	v_pk_fma_f16 v44, v42, s7, v49 op_sel_hi:[1,0,1]
	v_pk_fma_f16 v27, v42, s7, v27 op_sel_hi:[1,0,1]
	v_add_f16_e32 v42, v29, v11
	v_add_f16_sdwa v42, v42, v29 dst_sel:DWORD dst_unused:UNUSED_PAD src0_sel:DWORD src1_sel:WORD_1
	v_add_f16_sdwa v42, v42, v37 dst_sel:DWORD dst_unused:UNUSED_PAD src0_sel:DWORD src1_sel:WORD_1
	v_pk_add_f16 v45, v45, v46 neg_lo:[0,1] neg_hi:[0,1]
	v_pk_add_f16 v46, v29, v37
	v_add_f16_e32 v42, v42, v37
	v_pk_fma_f16 v11, v46, 0.5, v11 op_sel_hi:[1,0,0] neg_lo:[1,0,0] neg_hi:[1,0,0]
	v_pk_add_f16 v29, v29, v29 op_sel:[0,1] op_sel_hi:[1,0] neg_lo:[0,1] neg_hi:[0,1]
	v_pk_add_f16 v37, v37, v37 op_sel:[0,1] op_sel_hi:[1,0] neg_lo:[0,1] neg_hi:[0,1]
	v_pk_fma_f16 v46, v45, s4, v11 op_sel:[0,0,1] op_sel_hi:[1,0,0] neg_lo:[1,0,0] neg_hi:[1,0,0]
	v_pk_fma_f16 v11, v45, s4, v11 op_sel:[0,0,1] op_sel_hi:[1,0,0]
	v_pk_add_f16 v29, v29, v37
	v_add_f16_e32 v37, v12, v13
	v_bfi_b32 v47, s5, v46, v11
	v_bfi_b32 v11, s5, v11, v46
	v_fma_f16 v37, v37, -0.5, v17
	v_sub_f16_e32 v23, v23, v26
	s_mov_b32 s5, 0xbb9c
	v_pk_mul_f16 v45, v45, s6 op_sel_hi:[1,0]
	v_fma_f16 v26, v23, s5, v37
	v_sub_f16_e32 v22, v22, v25
	v_pk_add_f16 v47, v47, v45 op_sel:[0,1] op_sel_hi:[1,0] neg_lo:[0,1] neg_hi:[0,1]
	v_pk_add_f16 v11, v45, v11 op_sel:[1,0] op_sel_hi:[0,1]
	v_fma_f16 v25, v22, s8, v26
	v_sub_f16_e32 v26, v10, v13
	v_sub_f16_e32 v45, v24, v12
	v_add_f16_e32 v26, v45, v26
	v_fma_f16 v46, v26, s7, v25
	v_fma_f16 v25, v23, s4, v37
	v_pk_fma_f16 v53, v29, s7, v47 op_sel_hi:[1,0,1]
	v_pk_fma_f16 v29, v29, s7, v11 op_sel_hi:[1,0,1]
	v_add_f16_e32 v11, v17, v10
	v_fma_f16 v25, v22, s6, v25
	v_add_f16_e32 v11, v13, v11
	v_fma_f16 v50, v26, s7, v25
	v_add_f16_e32 v25, v24, v10
	v_add_f16_e32 v11, v12, v11
	v_fma_f16 v17, v25, -0.5, v17
	v_sub_f16_e32 v10, v13, v10
	v_sub_f16_e32 v12, v12, v24
	v_fma_f16 v25, v22, s4, v17
	v_add_f16_e32 v10, v12, v10
	v_fma_f16 v12, v22, s5, v17
	v_fma_f16 v25, v23, s8, v25
	v_fma_f16 v12, v23, s6, v12
	v_alignbit_b32 v52, v40, v40, 16
	v_add_f16_e32 v11, v24, v11
	v_fma_f16 v47, v10, s7, v25
	v_fma_f16 v49, v10, s7, v12
	s_waitcnt lgkmcnt(0)
	s_barrier
	ds_write_b16 v6, v7
	ds_write_b64 v6, v[51:52] offset:2
	ds_write_b16 v6, v54 offset:1250
	v_alignbit_b32 v45, v27, v27, 16
	v_alignbit_b32 v54, v29, v29, 16
	ds_write_b64 v6, v[44:45] offset:1252
	ds_write_b16 v6, v42 offset:2500
	ds_write_b64 v6, v[53:54] offset:2502
	s_and_saveexec_b64 s[4:5], vcc
	s_cbranch_execz .LBB0_21
; %bb.20:
	s_mov_b32 s6, 0x5040100
	v_perm_b32 v13, v49, v47, s6
	v_perm_b32 v12, v46, v11, s6
	ds_write_b64 v6, v[12:13] offset:3750
	ds_write_b16 v6, v50 offset:3758
.LBB0_21:
	s_or_b64 exec, exec, s[4:5]
	s_waitcnt lgkmcnt(0)
	s_barrier
	ds_read_u16 v17, v0
	ds_read_u16 v13, v0 offset:250
	ds_read_u16 v52, v0 offset:1050
	;; [unrolled: 1-line block ×14, first 2 shown]
	s_and_saveexec_b64 s[4:5], vcc
	s_cbranch_execz .LBB0_23
; %bb.22:
	ds_read_u16 v11, v0 offset:750
	ds_read_u16 v46, v0 offset:1550
	;; [unrolled: 1-line block ×5, first 2 shown]
.LBB0_23:
	s_or_b64 exec, exec, s[4:5]
	s_movk_i32 s4, 0xcd
	v_mul_lo_u16_sdwa v6, v8, s4 dst_sel:DWORD dst_unused:UNUSED_PAD src0_sel:BYTE_0 src1_sel:DWORD
	v_lshrrev_b16_e32 v61, 10, v6
	v_mul_lo_u16_e32 v6, 5, v61
	v_sub_u16_e32 v62, v8, v6
	v_mov_b32_e32 v6, 4
	v_lshlrev_b32_sdwa v7, v6, v62 dst_sel:DWORD dst_unused:UNUSED_PAD src0_sel:DWORD src1_sel:BYTE_0
	v_add_u16_e32 v10, 0x7d, v8
	global_load_dwordx4 v[53:56], v7, s[12:13]
	v_mul_lo_u16_sdwa v7, v10, s4 dst_sel:DWORD dst_unused:UNUSED_PAD src0_sel:BYTE_0 src1_sel:DWORD
	v_lshrrev_b16_e32 v64, 10, v7
	v_mul_lo_u16_e32 v7, 5, v64
	v_sub_u16_e32 v65, v10, v7
	v_lshlrev_b32_sdwa v6, v6, v65 dst_sel:DWORD dst_unused:UNUSED_PAD src0_sel:DWORD src1_sel:BYTE_0
	global_load_dwordx4 v[57:60], v6, s[12:13]
	v_add_u32_e32 v7, 0xfa, v8
	s_mov_b32 s4, 0xcccd
	v_add_u32_e32 v6, 0x177, v8
	v_mul_u32_u24_sdwa v24, v7, s4 dst_sel:DWORD dst_unused:UNUSED_PAD src0_sel:WORD_0 src1_sel:DWORD
	v_mul_u32_u24_sdwa v27, v6, s4 dst_sel:DWORD dst_unused:UNUSED_PAD src0_sel:WORD_0 src1_sel:DWORD
	v_lshrrev_b32_e32 v66, 18, v24
	v_lshrrev_b32_e32 v67, 18, v27
	v_mul_lo_u16_e32 v24, 5, v66
	v_mul_lo_u16_e32 v27, 5, v67
	v_sub_u16_e32 v69, v7, v24
	v_sub_u16_e32 v70, v6, v27
	v_lshlrev_b32_e32 v63, 4, v69
	v_lshlrev_b32_e32 v68, 4, v70
	s_movk_i32 s4, 0x3b9c
	s_mov_b32 s7, 0xbb9c
	s_movk_i32 s5, 0x38b4
	s_movk_i32 s6, 0x34f2
	v_mul_u32_u24_e32 v61, 50, v61
	v_lshlrev_b32_e32 v70, 1, v70
	s_waitcnt vmcnt(1) lgkmcnt(7)
	v_mul_f16_sdwa v24, v22, v53 dst_sel:DWORD dst_unused:UNUSED_PAD src0_sel:DWORD src1_sel:WORD_1
	v_mul_f16_sdwa v29, v35, v53 dst_sel:DWORD dst_unused:UNUSED_PAD src0_sel:DWORD src1_sel:WORD_1
	v_fma_f16 v27, v35, v53, -v24
	v_mul_f16_sdwa v24, v23, v54 dst_sel:DWORD dst_unused:UNUSED_PAD src0_sel:DWORD src1_sel:WORD_1
	v_fma_f16 v22, v22, v53, v29
	v_mul_f16_sdwa v29, v28, v54 dst_sel:DWORD dst_unused:UNUSED_PAD src0_sel:DWORD src1_sel:WORD_1
	v_fma_f16 v28, v28, v54, -v24
	s_waitcnt lgkmcnt(1)
	v_mul_f16_sdwa v35, v25, v55 dst_sel:DWORD dst_unused:UNUSED_PAD src0_sel:DWORD src1_sel:WORD_1
	v_fma_f16 v24, v23, v54, v29
	v_mul_f16_sdwa v23, v36, v55 dst_sel:DWORD dst_unused:UNUSED_PAD src0_sel:DWORD src1_sel:WORD_1
	v_fma_f16 v29, v36, v55, -v35
	v_mul_f16_sdwa v35, v26, v56 dst_sel:DWORD dst_unused:UNUSED_PAD src0_sel:DWORD src1_sel:WORD_1
	v_fma_f16 v25, v25, v55, v23
	v_mul_f16_sdwa v23, v30, v56 dst_sel:DWORD dst_unused:UNUSED_PAD src0_sel:DWORD src1_sel:WORD_1
	v_fma_f16 v30, v30, v56, -v35
	s_waitcnt vmcnt(0)
	v_mul_f16_sdwa v35, v52, v57 dst_sel:DWORD dst_unused:UNUSED_PAD src0_sel:DWORD src1_sel:WORD_1
	v_fma_f16 v26, v26, v56, v23
	v_mul_f16_sdwa v36, v31, v57 dst_sel:DWORD dst_unused:UNUSED_PAD src0_sel:DWORD src1_sel:WORD_1
	v_mul_f16_sdwa v71, v40, v58 dst_sel:DWORD dst_unused:UNUSED_PAD src0_sel:DWORD src1_sel:WORD_1
	global_load_dwordx4 v[53:56], v63, s[12:13]
	v_mul_f16_sdwa v63, v32, v58 dst_sel:DWORD dst_unused:UNUSED_PAD src0_sel:DWORD src1_sel:WORD_1
	v_fma_f16 v23, v31, v57, -v35
	v_fma_f16 v31, v52, v57, v36
	v_mul_f16_sdwa v36, v37, v59 dst_sel:DWORD dst_unused:UNUSED_PAD src0_sel:DWORD src1_sel:WORD_1
	v_fma_f16 v35, v32, v58, -v71
	v_mul_f16_sdwa v52, v33, v59 dst_sel:DWORD dst_unused:UNUSED_PAD src0_sel:DWORD src1_sel:WORD_1
	v_fma_f16 v32, v40, v58, v63
	v_mul_f16_sdwa v40, v51, v60 dst_sel:DWORD dst_unused:UNUSED_PAD src0_sel:DWORD src1_sel:WORD_1
	v_mul_f16_sdwa v57, v34, v60 dst_sel:DWORD dst_unused:UNUSED_PAD src0_sel:DWORD src1_sel:WORD_1
	v_fma_f16 v36, v33, v59, -v36
	v_fma_f16 v33, v37, v59, v52
	v_fma_f16 v37, v34, v60, -v40
	v_fma_f16 v34, v51, v60, v57
	global_load_dwordx4 v[57:60], v68, s[12:13]
	s_waitcnt vmcnt(0) lgkmcnt(0)
	s_barrier
	v_mul_f16_sdwa v40, v42, v53 dst_sel:DWORD dst_unused:UNUSED_PAD src0_sel:DWORD src1_sel:WORD_1
	v_mul_f16_sdwa v51, v39, v53 dst_sel:DWORD dst_unused:UNUSED_PAD src0_sel:DWORD src1_sel:WORD_1
	;; [unrolled: 1-line block ×4, first 2 shown]
	v_fma_f16 v40, v39, v53, -v40
	v_mul_f16_sdwa v68, v48, v55 dst_sel:DWORD dst_unused:UNUSED_PAD src0_sel:DWORD src1_sel:WORD_1
	v_fma_f16 v39, v42, v53, v51
	v_mul_f16_sdwa v51, v43, v55 dst_sel:DWORD dst_unused:UNUSED_PAD src0_sel:DWORD src1_sel:WORD_1
	v_fma_f16 v42, v41, v54, -v52
	v_fma_f16 v41, v44, v54, v63
	v_mul_f16_sdwa v52, v45, v56 dst_sel:DWORD dst_unused:UNUSED_PAD src0_sel:DWORD src1_sel:WORD_1
	v_mul_f16_sdwa v53, v38, v56 dst_sel:DWORD dst_unused:UNUSED_PAD src0_sel:DWORD src1_sel:WORD_1
	v_fma_f16 v44, v43, v55, -v68
	v_fma_f16 v43, v48, v55, v51
	v_mul_f16_sdwa v54, v46, v57 dst_sel:DWORD dst_unused:UNUSED_PAD src0_sel:DWORD src1_sel:WORD_1
	v_mul_f16_sdwa v55, v19, v57 dst_sel:DWORD dst_unused:UNUSED_PAD src0_sel:DWORD src1_sel:WORD_1
	v_fma_f16 v51, v19, v57, -v54
	v_mul_f16_sdwa v19, v20, v59 dst_sel:DWORD dst_unused:UNUSED_PAD src0_sel:DWORD src1_sel:WORD_1
	v_fma_f16 v48, v38, v56, -v52
	v_fma_f16 v45, v45, v56, v53
	v_mul_f16_sdwa v56, v49, v59 dst_sel:DWORD dst_unused:UNUSED_PAD src0_sel:DWORD src1_sel:WORD_1
	v_fma_f16 v49, v49, v59, v19
	v_mul_f16_sdwa v19, v50, v60 dst_sel:DWORD dst_unused:UNUSED_PAD src0_sel:DWORD src1_sel:WORD_1
	v_fma_f16 v54, v18, v60, -v19
	v_mul_f16_sdwa v18, v18, v60 dst_sel:DWORD dst_unused:UNUSED_PAD src0_sel:DWORD src1_sel:WORD_1
	v_fma_f16 v50, v50, v60, v18
	v_add_f16_e32 v18, v28, v29
	v_mul_f16_sdwa v38, v47, v58 dst_sel:DWORD dst_unused:UNUSED_PAD src0_sel:DWORD src1_sel:WORD_1
	v_mul_f16_sdwa v53, v21, v58 dst_sel:DWORD dst_unused:UNUSED_PAD src0_sel:DWORD src1_sel:WORD_1
	v_fma_f16 v18, v18, -0.5, v16
	v_sub_f16_e32 v19, v22, v26
	v_fma_f16 v46, v46, v57, v55
	v_fma_f16 v52, v21, v58, -v38
	v_fma_f16 v47, v47, v58, v53
	v_fma_f16 v53, v20, v59, -v56
	v_fma_f16 v20, v19, s4, v18
	v_sub_f16_e32 v21, v24, v25
	v_sub_f16_e32 v38, v27, v28
	;; [unrolled: 1-line block ×3, first 2 shown]
	v_fma_f16 v18, v19, s7, v18
	v_fma_f16 v20, v21, s5, v20
	v_add_f16_e32 v38, v38, v55
	v_fma_f16 v18, v21, s8, v18
	v_fma_f16 v55, v38, s6, v20
	;; [unrolled: 1-line block ×3, first 2 shown]
	v_add_f16_e32 v18, v27, v30
	v_fma_f16 v18, v18, -0.5, v16
	v_fma_f16 v20, v21, s7, v18
	v_sub_f16_e32 v56, v28, v27
	v_sub_f16_e32 v57, v29, v30
	v_fma_f16 v18, v21, s4, v18
	v_fma_f16 v20, v19, s5, v20
	v_add_f16_e32 v56, v56, v57
	v_fma_f16 v18, v19, s8, v18
	v_fma_f16 v57, v56, s6, v20
	;; [unrolled: 1-line block ×3, first 2 shown]
	v_add_f16_e32 v18, v35, v36
	v_fma_f16 v18, v18, -0.5, v14
	v_sub_f16_e32 v19, v31, v34
	v_fma_f16 v20, v19, s4, v18
	v_sub_f16_e32 v21, v32, v33
	v_sub_f16_e32 v58, v23, v35
	;; [unrolled: 1-line block ×3, first 2 shown]
	v_fma_f16 v18, v19, s7, v18
	v_fma_f16 v20, v21, s5, v20
	v_add_f16_e32 v58, v58, v59
	v_fma_f16 v18, v21, s8, v18
	v_fma_f16 v59, v58, s6, v20
	;; [unrolled: 1-line block ×3, first 2 shown]
	v_add_f16_e32 v18, v23, v37
	v_fma_f16 v18, v18, -0.5, v14
	v_fma_f16 v20, v21, s7, v18
	v_sub_f16_e32 v60, v35, v23
	v_sub_f16_e32 v63, v36, v37
	v_fma_f16 v18, v21, s4, v18
	v_fma_f16 v20, v19, s5, v20
	v_add_f16_e32 v60, v60, v63
	v_fma_f16 v18, v19, s8, v18
	v_fma_f16 v71, v60, s6, v20
	;; [unrolled: 1-line block ×3, first 2 shown]
	v_add_f16_e32 v18, v42, v44
	v_fma_f16 v18, v18, -0.5, v15
	v_sub_f16_e32 v19, v39, v45
	v_sub_f16_e32 v20, v40, v42
	;; [unrolled: 1-line block ×3, first 2 shown]
	v_add_f16_e32 v20, v20, v21
	v_fma_f16 v21, v19, s4, v18
	v_sub_f16_e32 v63, v41, v43
	v_fma_f16 v18, v19, s7, v18
	v_fma_f16 v21, v63, s5, v21
	;; [unrolled: 1-line block ×5, first 2 shown]
	v_sub_f16_e32 v18, v42, v40
	v_sub_f16_e32 v20, v44, v48
	v_add_f16_e32 v18, v18, v20
	v_add_f16_e32 v20, v40, v48
	v_fma_f16 v20, v20, -0.5, v15
	v_fma_f16 v21, v63, s7, v20
	v_fma_f16 v20, v63, s4, v20
	;; [unrolled: 1-line block ×6, first 2 shown]
	v_sub_f16_e32 v18, v51, v52
	v_sub_f16_e32 v19, v54, v53
	v_add_f16_e32 v18, v18, v19
	v_add_f16_e32 v19, v52, v53
	v_fma_f16 v19, v19, -0.5, v9
	v_sub_f16_e32 v21, v46, v50
	v_fma_f16 v20, v21, s4, v19
	v_sub_f16_e32 v63, v47, v49
	v_fma_f16 v19, v21, s7, v19
	v_fma_f16 v20, v63, s5, v20
	;; [unrolled: 1-line block ×5, first 2 shown]
	v_sub_f16_e32 v19, v52, v51
	v_sub_f16_e32 v68, v53, v54
	v_add_f16_e32 v19, v19, v68
	v_add_f16_e32 v68, v51, v54
	v_fma_f16 v68, v68, -0.5, v9
	v_fma_f16 v76, v63, s7, v68
	v_fma_f16 v63, v63, s4, v68
	;; [unrolled: 1-line block ×3, first 2 shown]
	v_add_f16_e32 v16, v16, v27
	v_fma_f16 v63, v21, s8, v63
	v_fma_f16 v21, v19, s6, v68
	v_mov_b32_e32 v68, 1
	v_add_f16_e32 v16, v16, v28
	v_add_f16_e32 v14, v14, v23
	v_lshlrev_b32_sdwa v62, v68, v62 dst_sel:DWORD dst_unused:UNUSED_PAD src0_sel:DWORD src1_sel:BYTE_0
	v_add_f16_e32 v16, v16, v29
	v_add_f16_e32 v14, v14, v35
	v_fma_f16 v19, v19, s6, v63
	v_add3_u32 v63, 0, v61, v62
	v_add_f16_e32 v16, v16, v30
	v_add_f16_e32 v14, v14, v36
	ds_write_b16 v63, v16
	ds_write_b16 v63, v55 offset:10
	ds_write_b16 v63, v57 offset:20
	;; [unrolled: 1-line block ×3, first 2 shown]
	v_add_f16_e32 v16, v14, v37
	v_add_f16_e32 v14, v15, v40
	;; [unrolled: 1-line block ×9, first 2 shown]
	ds_write_b16 v63, v38 offset:40
	v_mul_u32_u24_e32 v9, 50, v64
	v_lshlrev_b32_sdwa v38, v68, v65 dst_sel:DWORD dst_unused:UNUSED_PAD src0_sel:DWORD src1_sel:BYTE_0
	v_add3_u32 v68, 0, v9, v38
	ds_write_b16 v68, v16
	ds_write_b16 v68, v59 offset:10
	ds_write_b16 v68, v71 offset:20
	ds_write_b16 v68, v60 offset:30
	ds_write_b16 v68, v58 offset:40
	v_mul_u32_u24_e32 v9, 50, v66
	v_lshlrev_b32_e32 v16, 1, v69
	v_add3_u32 v71, 0, v9, v16
	v_mul_lo_u16_e32 v69, 25, v67
	ds_write_b16 v71, v15
	ds_write_b16 v71, v72 offset:10
	ds_write_b16 v71, v74 offset:20
	;; [unrolled: 1-line block ×4, first 2 shown]
	s_and_saveexec_b64 s[4:5], vcc
	s_cbranch_execz .LBB0_25
; %bb.24:
	v_lshlrev_b32_e32 v9, 1, v69
	v_add3_u32 v9, 0, v70, v9
	ds_write_b16 v9, v14
	ds_write_b16 v9, v20 offset:10
	ds_write_b16 v9, v21 offset:20
	;; [unrolled: 1-line block ×4, first 2 shown]
.LBB0_25:
	s_or_b64 exec, exec, s[4:5]
	s_waitcnt lgkmcnt(0)
	s_barrier
	ds_read_u16 v38, v0
	ds_read_u16 v16, v0 offset:250
	ds_read_u16 v62, v0 offset:1050
	;; [unrolled: 1-line block ×14, first 2 shown]
	v_lshl_add_u32 v9, v8, 1, 0
	s_and_saveexec_b64 s[4:5], vcc
	s_cbranch_execz .LBB0_27
; %bb.26:
	ds_read_u16 v20, v0 offset:1550
	ds_read_u16 v21, v0 offset:2350
	ds_read_u16 v19, v0 offset:3150
	ds_read_u16 v14, v9 offset:750
	ds_read_u16 v18, v0 offset:3950
.LBB0_27:
	s_or_b64 exec, exec, s[4:5]
	v_add_f16_e32 v73, v24, v25
	v_fma_f16 v73, v73, -0.5, v17
	v_sub_f16_e32 v27, v27, v30
	s_mov_b32 s4, 0xbb9c
	v_fma_f16 v30, v27, s4, v73
	v_sub_f16_e32 v28, v28, v29
	s_mov_b32 s5, 0xb8b4
	s_movk_i32 s7, 0x3b9c
	v_fma_f16 v29, v28, s5, v30
	v_sub_f16_e32 v30, v22, v24
	v_sub_f16_e32 v74, v26, v25
	v_fma_f16 v73, v27, s7, v73
	s_movk_i32 s8, 0x38b4
	v_add_f16_e32 v72, v17, v22
	v_add_f16_e32 v30, v30, v74
	v_fma_f16 v73, v28, s8, v73
	v_add_f16_e32 v72, v72, v24
	v_fma_f16 v29, v30, s6, v29
	v_fma_f16 v30, v30, s6, v73
	v_add_f16_e32 v73, v22, v26
	v_add_f16_e32 v72, v72, v25
	v_fma_f16 v17, v73, -0.5, v17
	v_sub_f16_e32 v22, v24, v22
	v_sub_f16_e32 v24, v25, v26
	v_add_f16_e32 v25, v32, v33
	v_fma_f16 v73, v28, s7, v17
	v_fma_f16 v17, v28, s4, v17
	v_fma_f16 v25, v25, -0.5, v13
	v_sub_f16_e32 v23, v23, v37
	v_add_f16_e32 v72, v72, v26
	v_fma_f16 v73, v27, s5, v73
	v_fma_f16 v17, v27, s8, v17
	;; [unrolled: 1-line block ×3, first 2 shown]
	v_sub_f16_e32 v27, v35, v36
	v_sub_f16_e32 v28, v31, v32
	;; [unrolled: 1-line block ×3, first 2 shown]
	v_fma_f16 v25, v23, s7, v25
	v_fma_f16 v26, v27, s5, v26
	v_add_f16_e32 v28, v28, v35
	v_fma_f16 v25, v27, s8, v25
	v_add_f16_e32 v22, v22, v24
	v_fma_f16 v26, v28, s6, v26
	v_fma_f16 v25, v28, s6, v25
	v_add_f16_e32 v28, v31, v34
	v_fma_f16 v24, v22, s6, v73
	v_fma_f16 v17, v22, s6, v17
	v_add_f16_e32 v22, v13, v31
	v_fma_f16 v13, v28, -0.5, v13
	v_add_f16_e32 v22, v22, v32
	v_fma_f16 v28, v27, s7, v13
	v_sub_f16_e32 v31, v32, v31
	v_sub_f16_e32 v32, v33, v34
	v_fma_f16 v13, v27, s4, v13
	v_fma_f16 v28, v23, s5, v28
	v_add_f16_e32 v31, v31, v32
	v_fma_f16 v13, v23, s8, v13
	v_add_f16_e32 v27, v41, v43
	v_add_f16_e32 v22, v22, v33
	v_fma_f16 v28, v31, s6, v28
	v_fma_f16 v13, v31, s6, v13
	v_fma_f16 v27, v27, -0.5, v12
	v_sub_f16_e32 v31, v40, v48
	v_add_f16_e32 v22, v22, v34
	v_fma_f16 v32, v31, s4, v27
	v_sub_f16_e32 v33, v42, v44
	v_sub_f16_e32 v34, v39, v41
	v_sub_f16_e32 v35, v45, v43
	v_fma_f16 v27, v31, s7, v27
	v_fma_f16 v32, v33, s5, v32
	v_add_f16_e32 v34, v34, v35
	v_fma_f16 v27, v33, s8, v27
	v_fma_f16 v32, v34, s6, v32
	v_fma_f16 v27, v34, s6, v27
	v_add_f16_e32 v34, v39, v45
	v_add_f16_e32 v23, v12, v39
	v_fma_f16 v12, v34, -0.5, v12
	v_fma_f16 v34, v33, s7, v12
	v_sub_f16_e32 v35, v41, v39
	v_sub_f16_e32 v36, v43, v45
	v_fma_f16 v12, v33, s4, v12
	v_fma_f16 v34, v31, s5, v34
	v_add_f16_e32 v35, v35, v36
	v_fma_f16 v12, v31, s8, v12
	v_add_f16_e32 v33, v47, v49
	v_fma_f16 v34, v35, s6, v34
	v_fma_f16 v31, v35, s6, v12
	v_fma_f16 v33, v33, -0.5, v11
	v_sub_f16_e32 v35, v51, v54
	v_fma_f16 v36, v35, s4, v33
	v_sub_f16_e32 v37, v52, v53
	v_sub_f16_e32 v39, v46, v47
	;; [unrolled: 1-line block ×3, first 2 shown]
	v_fma_f16 v33, v35, s7, v33
	v_add_f16_e32 v39, v39, v40
	v_fma_f16 v33, v37, s8, v33
	v_fma_f16 v48, v39, s6, v33
	v_add_f16_e32 v33, v46, v50
	v_add_f16_e32 v12, v11, v46
	v_fma_f16 v36, v37, s5, v36
	v_fma_f16 v11, v33, -0.5, v11
	v_add_f16_e32 v12, v12, v47
	v_fma_f16 v51, v39, s6, v36
	v_fma_f16 v33, v37, s7, v11
	v_sub_f16_e32 v36, v47, v46
	v_sub_f16_e32 v39, v49, v50
	v_fma_f16 v11, v37, s4, v11
	v_add_f16_e32 v23, v23, v41
	v_add_f16_e32 v12, v12, v49
	v_fma_f16 v33, v35, s5, v33
	v_add_f16_e32 v36, v36, v39
	v_fma_f16 v11, v35, s8, v11
	v_add_f16_e32 v23, v23, v43
	v_add_f16_e32 v12, v12, v50
	v_fma_f16 v47, v36, s6, v33
	v_fma_f16 v49, v36, s6, v11
	v_add_f16_e32 v23, v23, v45
	s_waitcnt lgkmcnt(0)
	s_barrier
	ds_write_b16 v63, v72
	ds_write_b16 v63, v29 offset:10
	ds_write_b16 v63, v24 offset:20
	ds_write_b16 v63, v17 offset:30
	ds_write_b16 v63, v30 offset:40
	ds_write_b16 v68, v22
	ds_write_b16 v68, v26 offset:10
	ds_write_b16 v68, v28 offset:20
	ds_write_b16 v68, v13 offset:30
	ds_write_b16 v68, v25 offset:40
	;; [unrolled: 5-line block ×3, first 2 shown]
	s_and_saveexec_b64 s[4:5], vcc
	s_cbranch_execz .LBB0_29
; %bb.28:
	v_lshlrev_b32_e32 v11, 1, v69
	v_add3_u32 v11, 0, v70, v11
	ds_write_b16 v11, v12
	ds_write_b16 v11, v51 offset:10
	ds_write_b16 v11, v47 offset:20
	;; [unrolled: 1-line block ×4, first 2 shown]
.LBB0_29:
	s_or_b64 exec, exec, s[4:5]
	s_waitcnt lgkmcnt(0)
	s_barrier
	ds_read_u16 v17, v0
	ds_read_u16 v13, v0 offset:250
	ds_read_u16 v34, v0 offset:1050
	;; [unrolled: 1-line block ×14, first 2 shown]
	s_and_saveexec_b64 s[4:5], vcc
	s_cbranch_execz .LBB0_31
; %bb.30:
	ds_read_u16 v51, v0 offset:1550
	ds_read_u16 v47, v0 offset:2350
	;; [unrolled: 1-line block ×5, first 2 shown]
.LBB0_31:
	s_or_b64 exec, exec, s[4:5]
	v_mov_b32_e32 v32, 41
	v_mul_lo_u16_sdwa v26, v8, v32 dst_sel:DWORD dst_unused:UNUSED_PAD src0_sel:BYTE_0 src1_sel:DWORD
	v_lshrrev_b16_e32 v50, 10, v26
	v_mul_lo_u16_e32 v26, 25, v50
	v_sub_u16_e32 v72, v8, v26
	v_mov_b32_e32 v36, 4
	v_lshlrev_b32_sdwa v26, v36, v72 dst_sel:DWORD dst_unused:UNUSED_PAD src0_sel:DWORD src1_sel:BYTE_0
	global_load_dwordx4 v[68:71], v26, s[12:13] offset:80
	v_mul_lo_u16_sdwa v32, v10, v32 dst_sel:DWORD dst_unused:UNUSED_PAD src0_sel:BYTE_0 src1_sel:DWORD
	s_movk_i32 s4, 0x47af
	s_mov_b32 s9, 0xbb9c
	s_movk_i32 s6, 0x38b4
	s_mov_b32 s14, 0xb8b4
	s_movk_i32 s8, 0x34f2
	s_waitcnt vmcnt(0)
	v_mul_f16_sdwa v28, v66, v68 dst_sel:DWORD dst_unused:UNUSED_PAD src0_sel:DWORD src1_sel:WORD_1
	v_mul_f16_sdwa v30, v64, v69 dst_sel:DWORD dst_unused:UNUSED_PAD src0_sel:DWORD src1_sel:WORD_1
	s_waitcnt lgkmcnt(7)
	v_mul_f16_sdwa v26, v22, v68 dst_sel:DWORD dst_unused:UNUSED_PAD src0_sel:DWORD src1_sel:WORD_1
	v_fma_f16 v22, v22, v68, v28
	v_mul_f16_sdwa v28, v23, v69 dst_sel:DWORD dst_unused:UNUSED_PAD src0_sel:DWORD src1_sel:WORD_1
	v_fma_f16 v23, v23, v69, v30
	s_waitcnt lgkmcnt(1)
	v_mul_f16_sdwa v30, v24, v70 dst_sel:DWORD dst_unused:UNUSED_PAD src0_sel:DWORD src1_sel:WORD_1
	v_fma_f16 v30, v67, v70, -v30
	v_mul_f16_sdwa v33, v67, v70 dst_sel:DWORD dst_unused:UNUSED_PAD src0_sel:DWORD src1_sel:WORD_1
	v_lshrrev_b16_e32 v67, 10, v32
	v_mul_lo_u16_e32 v32, 25, v67
	v_fma_f16 v26, v66, v68, -v26
	v_sub_u16_e32 v68, v10, v32
	v_fma_f16 v24, v24, v70, v33
	v_mul_f16_sdwa v33, v25, v71 dst_sel:DWORD dst_unused:UNUSED_PAD src0_sel:DWORD src1_sel:WORD_1
	v_lshlrev_b32_sdwa v10, v36, v68 dst_sel:DWORD dst_unused:UNUSED_PAD src0_sel:DWORD src1_sel:BYTE_0
	v_fma_f16 v28, v64, v69, -v28
	v_fma_f16 v33, v65, v71, -v33
	v_mul_f16_sdwa v39, v65, v71 dst_sel:DWORD dst_unused:UNUSED_PAD src0_sel:DWORD src1_sel:WORD_1
	global_load_dwordx4 v[63:66], v10, s[12:13] offset:80
	v_fma_f16 v25, v25, v71, v39
	s_waitcnt vmcnt(0)
	v_mul_f16_sdwa v10, v34, v63 dst_sel:DWORD dst_unused:UNUSED_PAD src0_sel:DWORD src1_sel:WORD_1
	v_fma_f16 v32, v62, v63, -v10
	v_mul_f16_sdwa v10, v62, v63 dst_sel:DWORD dst_unused:UNUSED_PAD src0_sel:DWORD src1_sel:WORD_1
	v_mul_f16_sdwa v36, v60, v64 dst_sel:DWORD dst_unused:UNUSED_PAD src0_sel:DWORD src1_sel:WORD_1
	;; [unrolled: 1-line block ×4, first 2 shown]
	v_fma_f16 v10, v34, v63, v10
	v_mul_f16_sdwa v34, v27, v64 dst_sel:DWORD dst_unused:UNUSED_PAD src0_sel:DWORD src1_sel:WORD_1
	v_fma_f16 v27, v27, v64, v36
	v_mul_f16_sdwa v36, v29, v65 dst_sel:DWORD dst_unused:UNUSED_PAD src0_sel:DWORD src1_sel:WORD_1
	v_fma_f16 v29, v29, v65, v39
	v_mul_f16_sdwa v39, v31, v66 dst_sel:DWORD dst_unused:UNUSED_PAD src0_sel:DWORD src1_sel:WORD_1
	v_fma_f16 v31, v31, v66, v41
	v_mul_u32_u24_sdwa v41, v7, s4 dst_sel:DWORD dst_unused:UNUSED_PAD src0_sel:WORD_0 src1_sel:DWORD
	v_sub_u16_sdwa v42, v7, v41 dst_sel:DWORD dst_unused:UNUSED_PAD src0_sel:DWORD src1_sel:WORD_1
	v_lshrrev_b16_e32 v42, 1, v42
	v_add_u16_sdwa v41, v42, v41 dst_sel:DWORD dst_unused:UNUSED_PAD src0_sel:DWORD src1_sel:WORD_1
	v_lshrrev_b16_e32 v63, 4, v41
	v_mul_lo_u16_e32 v41, 25, v63
	v_fma_f16 v34, v60, v64, -v34
	v_sub_u16_e32 v64, v7, v41
	v_lshlrev_b32_e32 v7, 4, v64
	v_fma_f16 v36, v59, v65, -v36
	v_fma_f16 v39, v61, v66, -v39
	global_load_dwordx4 v[59:62], v7, s[12:13] offset:80
	s_waitcnt vmcnt(0)
	v_mul_f16_sdwa v7, v35, v59 dst_sel:DWORD dst_unused:UNUSED_PAD src0_sel:DWORD src1_sel:WORD_1
	v_fma_f16 v41, v56, v59, -v7
	v_mul_f16_sdwa v7, v56, v59 dst_sel:DWORD dst_unused:UNUSED_PAD src0_sel:DWORD src1_sel:WORD_1
	v_fma_f16 v7, v35, v59, v7
	s_waitcnt lgkmcnt(0)
	v_mul_f16_sdwa v35, v43, v60 dst_sel:DWORD dst_unused:UNUSED_PAD src0_sel:DWORD src1_sel:WORD_1
	v_fma_f16 v42, v58, v60, -v35
	v_mul_f16_sdwa v35, v58, v60 dst_sel:DWORD dst_unused:UNUSED_PAD src0_sel:DWORD src1_sel:WORD_1
	v_mul_f16_sdwa v44, v57, v61 dst_sel:DWORD dst_unused:UNUSED_PAD src0_sel:DWORD src1_sel:WORD_1
	;; [unrolled: 1-line block ×3, first 2 shown]
	v_fma_f16 v35, v43, v60, v35
	v_mul_f16_sdwa v43, v37, v61 dst_sel:DWORD dst_unused:UNUSED_PAD src0_sel:DWORD src1_sel:WORD_1
	v_fma_f16 v37, v37, v61, v44
	v_mul_f16_sdwa v44, v40, v62 dst_sel:DWORD dst_unused:UNUSED_PAD src0_sel:DWORD src1_sel:WORD_1
	v_fma_f16 v40, v40, v62, v45
	v_mul_u32_u24_sdwa v45, v6, s4 dst_sel:DWORD dst_unused:UNUSED_PAD src0_sel:WORD_0 src1_sel:DWORD
	v_sub_u16_sdwa v46, v6, v45 dst_sel:DWORD dst_unused:UNUSED_PAD src0_sel:DWORD src1_sel:WORD_1
	v_lshrrev_b16_e32 v46, 1, v46
	v_add_u16_sdwa v45, v46, v45 dst_sel:DWORD dst_unused:UNUSED_PAD src0_sel:DWORD src1_sel:WORD_1
	v_lshrrev_b16_e32 v45, 4, v45
	v_mul_lo_u16_e32 v45, 25, v45
	v_sub_u16_e32 v6, v6, v45
	v_lshlrev_b32_e32 v45, 4, v6
	v_fma_f16 v44, v55, v62, -v44
	global_load_dwordx4 v[52:55], v45, s[12:13] offset:80
	v_sub_f16_e32 v56, v33, v30
	v_fma_f16 v43, v57, v61, -v43
	v_sub_f16_e32 v57, v30, v33
	v_sub_f16_e32 v58, v27, v29
	v_sub_f16_e32 v59, v32, v34
	v_sub_f16_e32 v60, v39, v36
	v_add_f16_e32 v59, v59, v60
	v_sub_f16_e32 v60, v34, v32
	v_sub_f16_e32 v61, v36, v39
	v_add_f16_e32 v60, v60, v61
	v_sub_f16_e32 v62, v35, v37
	v_sub_f16_e32 v65, v41, v42
	;; [unrolled: 1-line block ×3, first 2 shown]
	v_add_f16_e32 v65, v65, v66
	v_sub_f16_e32 v66, v42, v41
	v_sub_f16_e32 v69, v43, v44
	v_add_f16_e32 v66, v66, v69
	s_waitcnt vmcnt(0)
	s_barrier
	v_mul_f16_sdwa v46, v47, v53 dst_sel:DWORD dst_unused:UNUSED_PAD src0_sel:DWORD src1_sel:WORD_1
	v_fma_f16 v46, v21, v53, -v46
	v_mul_f16_sdwa v21, v21, v53 dst_sel:DWORD dst_unused:UNUSED_PAD src0_sel:DWORD src1_sel:WORD_1
	v_fma_f16 v21, v47, v53, v21
	v_mul_f16_sdwa v47, v49, v54 dst_sel:DWORD dst_unused:UNUSED_PAD src0_sel:DWORD src1_sel:WORD_1
	v_fma_f16 v47, v19, v54, -v47
	v_mul_f16_sdwa v19, v19, v54 dst_sel:DWORD dst_unused:UNUSED_PAD src0_sel:DWORD src1_sel:WORD_1
	v_fma_f16 v19, v49, v54, v19
	;; [unrolled: 4-line block ×3, first 2 shown]
	v_add_f16_e32 v48, v38, v26
	v_mul_f16_sdwa v45, v51, v52 dst_sel:DWORD dst_unused:UNUSED_PAD src0_sel:DWORD src1_sel:WORD_1
	v_add_f16_e32 v48, v48, v28
	v_fma_f16 v45, v20, v52, -v45
	v_mul_f16_sdwa v20, v20, v52 dst_sel:DWORD dst_unused:UNUSED_PAD src0_sel:DWORD src1_sel:WORD_1
	v_add_f16_e32 v48, v48, v30
	v_fma_f16 v20, v51, v52, v20
	v_add_f16_e32 v51, v48, v33
	v_add_f16_e32 v48, v28, v30
	v_fma_f16 v48, v48, -0.5, v38
	v_sub_f16_e32 v52, v22, v25
	v_fma_f16 v53, v52, s7, v48
	v_sub_f16_e32 v54, v23, v24
	v_sub_f16_e32 v55, v26, v28
	v_fma_f16 v48, v52, s9, v48
	v_fma_f16 v53, v54, s6, v53
	v_add_f16_e32 v55, v55, v56
	v_fma_f16 v48, v54, s14, v48
	v_fma_f16 v53, v55, s8, v53
	;; [unrolled: 1-line block ×3, first 2 shown]
	v_add_f16_e32 v48, v26, v33
	v_fma_f16 v38, v48, -0.5, v38
	v_fma_f16 v48, v54, s9, v38
	v_sub_f16_e32 v56, v28, v26
	v_fma_f16 v48, v52, s6, v48
	v_add_f16_e32 v56, v56, v57
	v_fma_f16 v57, v56, s8, v48
	v_add_f16_e32 v48, v16, v32
	v_add_f16_e32 v48, v48, v34
	v_fma_f16 v38, v54, s7, v38
	v_add_f16_e32 v48, v48, v36
	v_fma_f16 v38, v52, s14, v38
	v_add_f16_e32 v52, v48, v39
	v_add_f16_e32 v48, v34, v36
	v_fma_f16 v48, v48, -0.5, v16
	v_sub_f16_e32 v54, v10, v31
	v_fma_f16 v38, v56, s8, v38
	v_fma_f16 v56, v54, s7, v48
	;; [unrolled: 1-line block ×7, first 2 shown]
	v_add_f16_e32 v48, v32, v39
	v_fma_f16 v16, v48, -0.5, v16
	v_fma_f16 v48, v58, s9, v16
	v_fma_f16 v48, v54, s6, v48
	;; [unrolled: 1-line block ×3, first 2 shown]
	v_add_f16_e32 v48, v15, v41
	v_add_f16_e32 v48, v48, v42
	v_fma_f16 v16, v58, s7, v16
	v_add_f16_e32 v48, v48, v43
	v_fma_f16 v16, v54, s14, v16
	v_add_f16_e32 v54, v48, v44
	v_add_f16_e32 v48, v42, v43
	v_fma_f16 v48, v48, -0.5, v15
	v_sub_f16_e32 v58, v7, v40
	v_fma_f16 v16, v60, s8, v16
	v_fma_f16 v60, v58, s7, v48
	;; [unrolled: 1-line block ×7, first 2 shown]
	v_add_f16_e32 v48, v41, v44
	v_fma_f16 v15, v48, -0.5, v15
	v_fma_f16 v48, v62, s9, v15
	v_fma_f16 v48, v58, s6, v48
	v_fma_f16 v69, v66, s8, v48
	v_fma_f16 v15, v62, s7, v15
	v_mul_u32_u24_e32 v48, 0xfa, v50
	v_mov_b32_e32 v50, 1
	v_fma_f16 v15, v58, s14, v15
	v_lshlrev_b32_sdwa v58, v50, v72 dst_sel:DWORD dst_unused:UNUSED_PAD src0_sel:DWORD src1_sel:BYTE_0
	v_add3_u32 v48, 0, v48, v58
	ds_write_b16 v48, v51
	ds_write_b16 v48, v53 offset:50
	ds_write_b16 v48, v57 offset:100
	;; [unrolled: 1-line block ×4, first 2 shown]
	v_mul_u32_u24_e32 v38, 0xfa, v67
	v_lshlrev_b32_sdwa v50, v50, v68 dst_sel:DWORD dst_unused:UNUSED_PAD src0_sel:DWORD src1_sel:BYTE_0
	v_add3_u32 v50, 0, v38, v50
	ds_write_b16 v50, v52
	ds_write_b16 v50, v56 offset:50
	ds_write_b16 v50, v61 offset:100
	;; [unrolled: 1-line block ×4, first 2 shown]
	v_mul_u32_u24_e32 v16, 0xfa, v63
	v_lshlrev_b32_e32 v38, 1, v64
	v_add3_u32 v51, 0, v16, v38
	v_lshl_add_u32 v38, v6, 1, 0
	v_fma_f16 v15, v66, s8, v15
	ds_write_b16 v51, v54
	ds_write_b16 v51, v60 offset:50
	ds_write_b16 v51, v69 offset:100
	;; [unrolled: 1-line block ×4, first 2 shown]
	s_and_saveexec_b64 s[4:5], vcc
	s_cbranch_execz .LBB0_33
; %bb.32:
	v_sub_f16_e32 v6, v46, v45
	v_sub_f16_e32 v15, v47, v49
	v_add_f16_e32 v6, v6, v15
	v_add_f16_e32 v15, v45, v49
	v_fma_f16 v15, v15, -0.5, v14
	v_sub_f16_e32 v16, v21, v19
	v_fma_f16 v52, v16, s7, v15
	v_sub_f16_e32 v53, v20, v18
	v_fma_f16 v15, v16, s9, v15
	v_fma_f16 v52, v53, s14, v52
	v_fma_f16 v15, v53, s6, v15
	v_fma_f16 v52, v6, s8, v52
	v_fma_f16 v6, v6, s8, v15
	v_sub_f16_e32 v15, v45, v46
	v_sub_f16_e32 v54, v49, v47
	v_add_f16_e32 v15, v15, v54
	v_add_f16_e32 v54, v46, v47
	v_fma_f16 v54, v54, -0.5, v14
	v_add_f16_e32 v14, v14, v45
	v_add_f16_e32 v14, v14, v46
	v_fma_f16 v55, v53, s9, v54
	v_fma_f16 v53, v53, s7, v54
	v_add_f16_e32 v14, v14, v47
	v_fma_f16 v55, v16, s14, v55
	v_fma_f16 v16, v16, s6, v53
	v_add_f16_e32 v14, v14, v49
	v_fma_f16 v55, v15, s8, v55
	v_fma_f16 v15, v15, s8, v16
	ds_write_b16 v38, v14 offset:3750
	ds_write_b16 v38, v15 offset:3800
	;; [unrolled: 1-line block ×5, first 2 shown]
.LBB0_33:
	s_or_b64 exec, exec, s[4:5]
	v_add_f16_e32 v6, v17, v22
	v_add_f16_e32 v6, v6, v23
	;; [unrolled: 1-line block ×5, first 2 shown]
	v_fma_f16 v6, v6, -0.5, v17
	v_sub_f16_e32 v14, v26, v33
	v_fma_f16 v15, v14, s9, v6
	v_sub_f16_e32 v16, v28, v30
	v_sub_f16_e32 v26, v22, v23
	;; [unrolled: 1-line block ×3, first 2 shown]
	v_fma_f16 v6, v14, s7, v6
	v_add_f16_e32 v26, v26, v28
	v_fma_f16 v6, v16, s6, v6
	v_fma_f16 v33, v26, s8, v6
	v_add_f16_e32 v6, v22, v25
	v_fma_f16 v15, v16, s14, v15
	v_fma_f16 v6, v6, -0.5, v17
	v_fma_f16 v30, v26, s8, v15
	v_fma_f16 v15, v16, s7, v6
	v_sub_f16_e32 v17, v23, v22
	v_sub_f16_e32 v22, v24, v25
	v_fma_f16 v6, v16, s9, v6
	v_add_f16_e32 v17, v17, v22
	v_fma_f16 v6, v14, s6, v6
	v_fma_f16 v54, v17, s8, v6
	v_add_f16_e32 v6, v13, v10
	v_add_f16_e32 v6, v6, v27
	;; [unrolled: 1-line block ×5, first 2 shown]
	v_fma_f16 v15, v14, s14, v15
	v_fma_f16 v6, v6, -0.5, v13
	v_sub_f16_e32 v14, v32, v39
	v_fma_f16 v53, v17, s8, v15
	v_fma_f16 v15, v14, s9, v6
	v_sub_f16_e32 v16, v34, v36
	v_sub_f16_e32 v17, v10, v27
	;; [unrolled: 1-line block ×3, first 2 shown]
	v_fma_f16 v6, v14, s7, v6
	v_add_f16_e32 v17, v17, v22
	v_fma_f16 v6, v16, s6, v6
	v_fma_f16 v34, v17, s8, v6
	v_add_f16_e32 v6, v10, v31
	v_fma_f16 v15, v16, s14, v15
	v_fma_f16 v6, v6, -0.5, v13
	v_fma_f16 v32, v17, s8, v15
	v_fma_f16 v13, v16, s7, v6
	v_sub_f16_e32 v10, v27, v10
	v_sub_f16_e32 v15, v29, v31
	v_fma_f16 v6, v16, s9, v6
	v_add_f16_e32 v10, v10, v15
	v_fma_f16 v6, v14, s6, v6
	v_fma_f16 v31, v10, s8, v6
	v_add_f16_e32 v6, v11, v7
	v_add_f16_e32 v6, v6, v35
	v_add_f16_e32 v6, v6, v37
	v_fma_f16 v13, v14, s14, v13
	v_add_f16_e32 v36, v6, v40
	v_add_f16_e32 v6, v35, v37
	v_fma_f16 v29, v10, s8, v13
	v_fma_f16 v6, v6, -0.5, v11
	v_sub_f16_e32 v10, v41, v44
	v_fma_f16 v13, v10, s9, v6
	v_sub_f16_e32 v14, v42, v43
	v_sub_f16_e32 v15, v7, v35
	;; [unrolled: 1-line block ×3, first 2 shown]
	v_fma_f16 v6, v10, s7, v6
	v_add_f16_e32 v15, v15, v16
	v_fma_f16 v6, v14, s6, v6
	v_fma_f16 v41, v15, s8, v6
	v_add_f16_e32 v6, v7, v40
	v_fma_f16 v13, v14, s14, v13
	v_fma_f16 v6, v6, -0.5, v11
	v_fma_f16 v39, v15, s8, v13
	v_fma_f16 v11, v14, s7, v6
	v_sub_f16_e32 v7, v35, v7
	v_sub_f16_e32 v13, v37, v40
	v_fma_f16 v6, v14, s9, v6
	v_fma_f16 v11, v10, s14, v11
	v_add_f16_e32 v7, v7, v13
	v_fma_f16 v6, v10, s6, v6
	v_fma_f16 v35, v7, s8, v11
	;; [unrolled: 1-line block ×3, first 2 shown]
	s_waitcnt lgkmcnt(0)
	s_barrier
	ds_read_u16 v6, v0
	ds_read_u16 v14, v0 offset:250
	ds_read_u16 v26, v0 offset:500
	;; [unrolled: 1-line block ×15, first 2 shown]
	s_waitcnt lgkmcnt(0)
	s_barrier
	ds_write_b16 v48, v52
	ds_write_b16 v48, v30 offset:50
	ds_write_b16 v48, v53 offset:100
	ds_write_b16 v48, v54 offset:150
	ds_write_b16 v48, v33 offset:200
	ds_write_b16 v50, v55
	ds_write_b16 v50, v32 offset:50
	ds_write_b16 v50, v29 offset:100
	ds_write_b16 v50, v31 offset:150
	ds_write_b16 v50, v34 offset:200
	;; [unrolled: 5-line block ×3, first 2 shown]
	s_and_saveexec_b64 s[4:5], vcc
	s_cbranch_execz .LBB0_35
; %bb.34:
	v_add_f16_e32 v30, v21, v19
	v_fma_f16 v30, v30, -0.5, v12
	v_sub_f16_e32 v31, v45, v49
	s_mov_b32 s6, 0xbb9c
	s_movk_i32 s9, 0x3b9c
	v_fma_f16 v32, v31, s6, v30
	v_sub_f16_e32 v33, v46, v47
	s_mov_b32 s7, 0xb8b4
	v_sub_f16_e32 v34, v20, v21
	v_sub_f16_e32 v35, v18, v19
	v_fma_f16 v30, v31, s9, v30
	s_movk_i32 s14, 0x38b4
	v_add_f16_e32 v29, v12, v20
	v_fma_f16 v32, v33, s7, v32
	v_add_f16_e32 v34, v34, v35
	v_fma_f16 v30, v33, s14, v30
	;; [unrolled: 2-line block ×3, first 2 shown]
	v_fma_f16 v30, v34, s8, v30
	v_add_f16_e32 v34, v20, v18
	v_add_f16_e32 v29, v29, v19
	v_fma_f16 v12, v34, -0.5, v12
	v_add_f16_e32 v29, v29, v18
	v_fma_f16 v34, v33, s9, v12
	v_sub_f16_e32 v20, v21, v20
	v_sub_f16_e32 v18, v19, v18
	v_fma_f16 v12, v33, s6, v12
	v_fma_f16 v34, v31, s7, v34
	v_add_f16_e32 v18, v20, v18
	v_fma_f16 v12, v31, s14, v12
	v_fma_f16 v19, v18, s8, v34
	;; [unrolled: 1-line block ×3, first 2 shown]
	ds_write_b16 v38, v29 offset:3750
	ds_write_b16 v38, v32 offset:3800
	;; [unrolled: 1-line block ×5, first 2 shown]
.LBB0_35:
	s_or_b64 exec, exec, s[4:5]
	s_waitcnt lgkmcnt(0)
	s_barrier
	s_and_saveexec_b64 s[4:5], s[0:1]
	s_cbranch_execz .LBB0_37
; %bb.36:
	v_mul_u32_u24_e32 v8, 15, v8
	v_lshlrev_b32_e32 v8, 2, v8
	global_load_dwordx4 v[18:21], v8, s[12:13] offset:496
	global_load_dwordx4 v[29:32], v8, s[12:13] offset:480
	;; [unrolled: 1-line block ×3, first 2 shown]
	global_load_dwordx3 v[37:39], v8, s[12:13] offset:528
	v_mul_lo_u32 v8, s3, v3
	v_mul_lo_u32 v12, s2, v4
	v_mad_u64_u32 v[3:4], s[0:1], s2, v3, 0
	ds_read_u16 v40, v0 offset:3750
	ds_read_u16 v41, v0 offset:3500
	;; [unrolled: 1-line block ×15, first 2 shown]
	ds_read_u16 v0, v0
	s_movk_i32 s2, 0x39a8
	v_add3_u32 v4, v4, v12, v8
	s_mov_b32 s0, 0xb9a8
	s_movk_i32 s1, 0x361f
	v_lshlrev_b64 v[3:4], 2, v[3:4]
	s_mov_b32 s3, 0xbb64
	v_add_co_u32_e32 v3, vcc, s10, v3
	s_movk_i32 s4, 0x3b64
	s_mov_b32 s5, 0xb61f
	s_waitcnt vmcnt(3) lgkmcnt(8)
	v_mul_f16_sdwa v8, v47, v21 dst_sel:DWORD dst_unused:UNUSED_PAD src0_sel:DWORD src1_sel:WORD_1
	v_mul_f16_sdwa v57, v25, v19 dst_sel:DWORD dst_unused:UNUSED_PAD src0_sel:DWORD src1_sel:WORD_1
	s_waitcnt lgkmcnt(6)
	v_mul_f16_sdwa v61, v49, v19 dst_sel:DWORD dst_unused:UNUSED_PAD src0_sel:DWORD src1_sel:WORD_1
	s_waitcnt vmcnt(0)
	v_mul_f16_sdwa v62, v41, v38 dst_sel:DWORD dst_unused:UNUSED_PAD src0_sel:DWORD src1_sel:WORD_1
	s_waitcnt lgkmcnt(1)
	v_mul_f16_sdwa v63, v53, v29 dst_sel:DWORD dst_unused:UNUSED_PAD src0_sel:DWORD src1_sel:WORD_1
	v_mul_f16_sdwa v55, v52, v30 dst_sel:DWORD dst_unused:UNUSED_PAD src0_sel:DWORD src1_sel:WORD_1
	;; [unrolled: 1-line block ×4, first 2 shown]
	v_fma_f16 v8, v11, v21, -v8
	v_fma_f16 v49, v49, v19, v57
	v_fma_f16 v19, v25, v19, -v61
	v_fma_f16 v25, v27, v38, -v62
	;; [unrolled: 1-line block ×3, first 2 shown]
	v_mul_f16_sdwa v14, v14, v29 dst_sel:DWORD dst_unused:UNUSED_PAD src0_sel:DWORD src1_sel:WORD_1
	v_mul_f16_sdwa v11, v11, v21 dst_sel:DWORD dst_unused:UNUSED_PAD src0_sel:DWORD src1_sel:WORD_1
	;; [unrolled: 1-line block ×7, first 2 shown]
	v_fma_f16 v26, v26, v30, -v55
	v_fma_f16 v55, v24, v31, -v67
	v_mul_f16_sdwa v24, v24, v31 dst_sel:DWORD dst_unused:UNUSED_PAD src0_sel:DWORD src1_sel:WORD_1
	v_fma_f16 v14, v29, v53, v14
	v_mul_f16_sdwa v29, v50, v18 dst_sel:DWORD dst_unused:UNUSED_PAD src0_sel:DWORD src1_sel:WORD_1
	v_fma_f16 v11, v21, v47, v11
	v_mul_f16_sdwa v21, v51, v32 dst_sel:DWORD dst_unused:UNUSED_PAD src0_sel:DWORD src1_sel:WORD_1
	v_mul_f16_sdwa v12, v7, v32 dst_sel:DWORD dst_unused:UNUSED_PAD src0_sel:DWORD src1_sel:WORD_1
	;; [unrolled: 1-line block ×6, first 2 shown]
	v_fma_f16 v28, v28, v34, -v56
	v_fma_f16 v41, v41, v38, v58
	v_fma_f16 v34, v34, v45, v60
	v_fma_f16 v38, v16, v33, -v64
	v_fma_f16 v45, v50, v18, v65
	v_fma_f16 v9, v31, v9, v24
	v_mul_f16_sdwa v24, v48, v20 dst_sel:DWORD dst_unused:UNUSED_PAD src0_sel:DWORD src1_sel:WORD_1
	v_mul_f16_sdwa v16, v16, v33 dst_sel:DWORD dst_unused:UNUSED_PAD src0_sel:DWORD src1_sel:WORD_1
	v_fma_f16 v13, v13, v18, -v29
	v_mul_f16_sdwa v18, v42, v37 dst_sel:DWORD dst_unused:UNUSED_PAD src0_sel:DWORD src1_sel:WORD_1
	v_fma_f16 v7, v7, v32, -v21
	v_mul_f16_sdwa v21, v43, v36 dst_sel:DWORD dst_unused:UNUSED_PAD src0_sel:DWORD src1_sel:WORD_1
	v_mul_f16_sdwa v70, v22, v39 dst_sel:DWORD dst_unused:UNUSED_PAD src0_sel:DWORD src1_sel:WORD_1
	v_fma_f16 v12, v51, v32, v12
	v_fma_f16 v54, v43, v36, v54
	;; [unrolled: 1-line block ×4, first 2 shown]
	v_fma_f16 v56, v23, v35, -v68
	v_fma_f16 v57, v48, v20, v69
	v_mul_f16_sdwa v23, v23, v35 dst_sel:DWORD dst_unused:UNUSED_PAD src0_sel:DWORD src1_sel:WORD_1
	v_fma_f16 v17, v17, v20, -v24
	v_mul_f16_sdwa v20, v40, v39 dst_sel:DWORD dst_unused:UNUSED_PAD src0_sel:DWORD src1_sel:WORD_1
	v_fma_f16 v16, v33, v46, v16
	v_fma_f16 v15, v15, v37, -v18
	v_fma_f16 v10, v10, v36, -v21
	v_fma_f16 v58, v40, v39, v70
	v_sub_f16_e32 v8, v6, v8
	v_sub_f16_e32 v54, v12, v54
	;; [unrolled: 1-line block ×4, first 2 shown]
	v_fma_f16 v23, v35, v44, v23
	v_fma_f16 v20, v22, v39, -v20
	v_sub_f16_e32 v16, v14, v16
	v_sub_f16_e32 v15, v13, v15
	s_waitcnt lgkmcnt(0)
	v_sub_f16_e32 v11, v0, v11
	v_sub_f16_e32 v10, v7, v10
	;; [unrolled: 1-line block ×12, first 2 shown]
	v_add_f16_e32 v18, v16, v15
	v_add_f16_e32 v21, v10, v11
	v_fma_f16 v64, v8, 2.0, -v59
	v_fma_f16 v67, v38, 2.0, -v62
	;; [unrolled: 1-line block ×20, first 2 shown]
	v_add_f16_e32 v22, v23, v20
	v_sub_f16_e32 v7, v6, v7
	v_sub_f16_e32 v10, v8, v10
	;; [unrolled: 1-line block ×9, first 2 shown]
	v_add_f16_e32 v61, v34, v25
	v_sub_f16_e32 v63, v56, v58
	v_fma_f16 v24, v23, 2.0, -v22
	v_sub_f16_e32 v30, v7, v10
	v_sub_f16_e32 v23, v13, v15
	v_add_f16_e32 v20, v16, v17
	v_add_f16_e32 v25, v19, v11
	v_fma_f16 v0, v0, 2.0, -v11
	v_fma_f16 v8, v8, 2.0, -v10
	;; [unrolled: 1-line block ×6, first 2 shown]
	v_fma_f16 v26, v20, s2, v25
	v_fma_f16 v6, v6, 2.0, -v7
	v_fma_f16 v14, v14, 2.0, -v16
	;; [unrolled: 1-line block ×3, first 2 shown]
	v_sub_f16_e32 v8, v0, v8
	v_sub_f16_e32 v17, v10, v17
	v_fma_f16 v7, v7, 2.0, -v30
	v_fma_f16 v13, v13, 2.0, -v23
	;; [unrolled: 1-line block ×3, first 2 shown]
	v_fma_f16 v69, v65, s0, v64
	v_fma_f16 v70, v68, s0, v67
	;; [unrolled: 1-line block ×4, first 2 shown]
	v_fma_f16 v12, v12, 2.0, -v19
	v_sub_f16_e32 v9, v14, v9
	v_add_f16_e32 v19, v8, v17
	v_fma_f16 v23, v13, s0, v7
	v_fma_f16 v16, v16, 2.0, -v20
	v_fma_f16 v69, v66, s0, v69
	v_fma_f16 v31, v24, s0, v70
	;; [unrolled: 1-line block ×5, first 2 shown]
	v_fma_f16 v23, v8, 2.0, -v19
	v_fma_f16 v0, v0, 2.0, -v8
	;; [unrolled: 1-line block ×3, first 2 shown]
	v_fma_f16 v35, v31, s1, v69
	v_fma_f16 v24, v68, s2, v24
	v_sub_f16_e32 v8, v0, v8
	v_fma_f16 v33, v24, s3, v35
	v_fma_f16 v35, v66, s0, v32
	v_sub_f16_e32 v12, v6, v12
	v_fma_f16 v10, v10, 2.0, -v17
	v_fma_f16 v17, v0, 2.0, -v8
	v_mov_b32_e32 v0, s11
	v_fma_f16 v35, v65, s2, v35
	v_fma_f16 v37, v60, s2, v59
	;; [unrolled: 1-line block ×3, first 2 shown]
	v_fma_f16 v6, v6, 2.0, -v12
	v_addc_co_u32_e32 v4, vcc, v0, v4, vcc
	v_lshlrev_b64 v[0:1], 2, v[1:2]
	v_fma_f16 v36, v24, s1, v35
	v_fma_f16 v37, v61, s0, v37
	;; [unrolled: 1-line block ×5, first 2 shown]
	v_sub_f16_e32 v10, v6, v10
	v_fma_f16 v36, v31, s4, v36
	v_fma_f16 v40, v39, s4, v37
	;; [unrolled: 1-line block ×4, first 2 shown]
	v_fma_f16 v27, v64, 2.0, -v69
	v_fma_f16 v31, v67, 2.0, -v31
	;; [unrolled: 1-line block ×3, first 2 shown]
	v_mov_b32_e32 v6, 0
	v_add_co_u32_e32 v2, vcc, v3, v0
	v_fma_f16 v40, v22, s5, v40
	v_fma_f16 v44, v22, s4, v43
	;; [unrolled: 1-line block ×3, first 2 shown]
	v_fma_f16 v24, v29, 2.0, -v24
	v_fma_f16 v32, v32, 2.0, -v35
	v_addc_co_u32_e32 v3, vcc, v4, v1, vcc
	v_lshlrev_b64 v[0:1], 2, v[5:6]
	v_fma_f16 v42, v37, 2.0, -v40
	v_fma_f16 v44, v39, s1, v44
	v_fma_f16 v37, v59, 2.0, -v37
	v_fma_f16 v39, v62, 2.0, -v39
	;; [unrolled: 1-line block ×3, first 2 shown]
	v_fma_f16 v29, v24, s5, v38
	v_fma_f16 v24, v24, s3, v32
	;; [unrolled: 1-line block ×3, first 2 shown]
	v_fma_f16 v18, v18, 2.0, -v22
	v_fma_f16 v21, v21, 2.0, -v43
	v_fma_f16 v16, v16, s0, v11
	v_fma_f16 v24, v31, s1, v24
	v_add_co_u32_e32 v0, vcc, v2, v0
	v_fma_f16 v22, v18, s3, v45
	v_fma_f16 v18, v18, s5, v21
	;; [unrolled: 1-line block ×3, first 2 shown]
	v_fma_f16 v27, v27, 2.0, -v29
	v_fma_f16 v31, v32, 2.0, -v24
	v_addc_co_u32_e32 v1, vcc, v3, v1, vcc
	v_pack_b32_f16 v2, v14, v17
	v_fma_f16 v18, v39, s4, v18
	v_fma_f16 v7, v7, 2.0, -v20
	v_fma_f16 v11, v11, 2.0, -v13
	global_store_dword v[0:1], v2, off
	v_pack_b32_f16 v2, v27, v31
	v_fma_f16 v37, v37, 2.0, -v22
	v_fma_f16 v21, v21, 2.0, -v18
	v_sub_f16_e32 v15, v12, v9
	global_store_dword v[0:1], v2, off offset:500
	v_pack_b32_f16 v2, v7, v11
	v_fma_f16 v16, v12, 2.0, -v15
	global_store_dword v[0:1], v2, off offset:1000
	v_pack_b32_f16 v2, v37, v21
	v_fma_f16 v28, v69, 2.0, -v33
	v_fma_f16 v41, v35, 2.0, -v36
	global_store_dword v[0:1], v2, off offset:1500
	v_pack_b32_f16 v2, v16, v23
	v_fma_f16 v9, v30, 2.0, -v34
	;; [unrolled: 4-line block ×3, first 2 shown]
	global_store_dword v[0:1], v2, off offset:2500
	v_pack_b32_f16 v2, v9, v12
	global_store_dword v[0:1], v2, off offset:3000
	v_pack_b32_f16 v2, v42, v46
	;; [unrolled: 2-line block ×3, first 2 shown]
	s_movk_i32 s0, 0x1000
	global_store_dword v[0:1], v2, off offset:4000
	v_add_co_u32_e32 v0, vcc, s0, v0
	v_pack_b32_f16 v2, v29, v24
	v_addc_co_u32_e32 v1, vcc, 0, v1, vcc
	global_store_dword v[0:1], v2, off offset:404
	v_pack_b32_f16 v2, v20, v13
	global_store_dword v[0:1], v2, off offset:904
	v_pack_b32_f16 v2, v22, v18
	;; [unrolled: 2-line block ×6, first 2 shown]
	global_store_dword v[0:1], v2, off offset:3404
.LBB0_37:
	s_endpgm
	.section	.rodata,"a",@progbits
	.p2align	6, 0x0
	.amdhsa_kernel fft_rtc_fwd_len2000_factors_5_5_5_16_wgs_125_tpt_125_halfLds_half_op_CI_CI_unitstride_sbrr_dirReg
		.amdhsa_group_segment_fixed_size 0
		.amdhsa_private_segment_fixed_size 0
		.amdhsa_kernarg_size 104
		.amdhsa_user_sgpr_count 6
		.amdhsa_user_sgpr_private_segment_buffer 1
		.amdhsa_user_sgpr_dispatch_ptr 0
		.amdhsa_user_sgpr_queue_ptr 0
		.amdhsa_user_sgpr_kernarg_segment_ptr 1
		.amdhsa_user_sgpr_dispatch_id 0
		.amdhsa_user_sgpr_flat_scratch_init 0
		.amdhsa_user_sgpr_private_segment_size 0
		.amdhsa_uses_dynamic_stack 0
		.amdhsa_system_sgpr_private_segment_wavefront_offset 0
		.amdhsa_system_sgpr_workgroup_id_x 1
		.amdhsa_system_sgpr_workgroup_id_y 0
		.amdhsa_system_sgpr_workgroup_id_z 0
		.amdhsa_system_sgpr_workgroup_info 0
		.amdhsa_system_vgpr_workitem_id 0
		.amdhsa_next_free_vgpr 77
		.amdhsa_next_free_sgpr 28
		.amdhsa_reserve_vcc 1
		.amdhsa_reserve_flat_scratch 0
		.amdhsa_float_round_mode_32 0
		.amdhsa_float_round_mode_16_64 0
		.amdhsa_float_denorm_mode_32 3
		.amdhsa_float_denorm_mode_16_64 3
		.amdhsa_dx10_clamp 1
		.amdhsa_ieee_mode 1
		.amdhsa_fp16_overflow 0
		.amdhsa_exception_fp_ieee_invalid_op 0
		.amdhsa_exception_fp_denorm_src 0
		.amdhsa_exception_fp_ieee_div_zero 0
		.amdhsa_exception_fp_ieee_overflow 0
		.amdhsa_exception_fp_ieee_underflow 0
		.amdhsa_exception_fp_ieee_inexact 0
		.amdhsa_exception_int_div_zero 0
	.end_amdhsa_kernel
	.text
.Lfunc_end0:
	.size	fft_rtc_fwd_len2000_factors_5_5_5_16_wgs_125_tpt_125_halfLds_half_op_CI_CI_unitstride_sbrr_dirReg, .Lfunc_end0-fft_rtc_fwd_len2000_factors_5_5_5_16_wgs_125_tpt_125_halfLds_half_op_CI_CI_unitstride_sbrr_dirReg
                                        ; -- End function
	.section	.AMDGPU.csdata,"",@progbits
; Kernel info:
; codeLenInByte = 11292
; NumSgprs: 32
; NumVgprs: 77
; ScratchSize: 0
; MemoryBound: 0
; FloatMode: 240
; IeeeMode: 1
; LDSByteSize: 0 bytes/workgroup (compile time only)
; SGPRBlocks: 3
; VGPRBlocks: 19
; NumSGPRsForWavesPerEU: 32
; NumVGPRsForWavesPerEU: 77
; Occupancy: 3
; WaveLimiterHint : 1
; COMPUTE_PGM_RSRC2:SCRATCH_EN: 0
; COMPUTE_PGM_RSRC2:USER_SGPR: 6
; COMPUTE_PGM_RSRC2:TRAP_HANDLER: 0
; COMPUTE_PGM_RSRC2:TGID_X_EN: 1
; COMPUTE_PGM_RSRC2:TGID_Y_EN: 0
; COMPUTE_PGM_RSRC2:TGID_Z_EN: 0
; COMPUTE_PGM_RSRC2:TIDIG_COMP_CNT: 0
	.type	__hip_cuid_500b493974951bc5,@object ; @__hip_cuid_500b493974951bc5
	.section	.bss,"aw",@nobits
	.globl	__hip_cuid_500b493974951bc5
__hip_cuid_500b493974951bc5:
	.byte	0                               ; 0x0
	.size	__hip_cuid_500b493974951bc5, 1

	.ident	"AMD clang version 19.0.0git (https://github.com/RadeonOpenCompute/llvm-project roc-6.4.0 25133 c7fe45cf4b819c5991fe208aaa96edf142730f1d)"
	.section	".note.GNU-stack","",@progbits
	.addrsig
	.addrsig_sym __hip_cuid_500b493974951bc5
	.amdgpu_metadata
---
amdhsa.kernels:
  - .args:
      - .actual_access:  read_only
        .address_space:  global
        .offset:         0
        .size:           8
        .value_kind:     global_buffer
      - .offset:         8
        .size:           8
        .value_kind:     by_value
      - .actual_access:  read_only
        .address_space:  global
        .offset:         16
        .size:           8
        .value_kind:     global_buffer
      - .actual_access:  read_only
        .address_space:  global
        .offset:         24
        .size:           8
        .value_kind:     global_buffer
      - .actual_access:  read_only
        .address_space:  global
        .offset:         32
        .size:           8
        .value_kind:     global_buffer
      - .offset:         40
        .size:           8
        .value_kind:     by_value
      - .actual_access:  read_only
        .address_space:  global
        .offset:         48
        .size:           8
        .value_kind:     global_buffer
      - .actual_access:  read_only
        .address_space:  global
        .offset:         56
        .size:           8
        .value_kind:     global_buffer
      - .offset:         64
        .size:           4
        .value_kind:     by_value
      - .actual_access:  read_only
        .address_space:  global
        .offset:         72
        .size:           8
        .value_kind:     global_buffer
      - .actual_access:  read_only
        .address_space:  global
        .offset:         80
        .size:           8
        .value_kind:     global_buffer
      - .actual_access:  read_only
        .address_space:  global
        .offset:         88
        .size:           8
        .value_kind:     global_buffer
      - .actual_access:  write_only
        .address_space:  global
        .offset:         96
        .size:           8
        .value_kind:     global_buffer
    .group_segment_fixed_size: 0
    .kernarg_segment_align: 8
    .kernarg_segment_size: 104
    .language:       OpenCL C
    .language_version:
      - 2
      - 0
    .max_flat_workgroup_size: 125
    .name:           fft_rtc_fwd_len2000_factors_5_5_5_16_wgs_125_tpt_125_halfLds_half_op_CI_CI_unitstride_sbrr_dirReg
    .private_segment_fixed_size: 0
    .sgpr_count:     32
    .sgpr_spill_count: 0
    .symbol:         fft_rtc_fwd_len2000_factors_5_5_5_16_wgs_125_tpt_125_halfLds_half_op_CI_CI_unitstride_sbrr_dirReg.kd
    .uniform_work_group_size: 1
    .uses_dynamic_stack: false
    .vgpr_count:     77
    .vgpr_spill_count: 0
    .wavefront_size: 64
amdhsa.target:   amdgcn-amd-amdhsa--gfx906
amdhsa.version:
  - 1
  - 2
...

	.end_amdgpu_metadata
